;; amdgpu-corpus repo=ROCm/aiter kind=harvested arch=n/a opt=n/a

/root/src/amdgpu-assembly/repos/ROCm__aiter/hsa/gfx942/fmha_v3_bwd/bwd_hd128_bf16_swa_a32_rtna_psskddv.co:	file format elf64-amdgpu

Disassembly of section .text:

0000000000003e00 <_ZN5aiter40fmha_bwd_hd128_bf16_swa_a32_rtna_psskddvE>:
	s_and_b32 s1, s1, 0xffff                                   // 000000003E00: 8601FF01 0000FFFF
	s_load_dwordx2 s[32:33], s[0:1], 0x0                       // 000000003E08: C0060800 00000000
	s_load_dwordx2 s[36:37], s[0:1], 0x10                      // 000000003E10: C0060900 00000010
	s_load_dwordx2 s[40:41], s[0:1], 0x20                      // 000000003E18: C0060A00 00000020
	s_load_dwordx2 s[8:9], s[0:1], 0x30                        // 000000003E20: C0060200 00000030
	s_load_dwordx2 s[12:13], s[0:1], 0x40                      // 000000003E28: C0060300 00000040
	s_load_dwordx2 s[16:17], s[0:1], 0x50                      // 000000003E30: C0060400 00000050
	s_load_dwordx2 s[20:21], s[0:1], 0x60                      // 000000003E38: C0060500 00000060
	s_load_dwordx2 s[24:25], s[0:1], 0x70                      // 000000003E40: C0060600 00000070
	s_load_dwordx2 s[28:29], s[0:1], 0x80                      // 000000003E48: C0060700 00000080
	s_load_dword s47, s[0:1], 0x90                             // 000000003E50: C0020BC0 00000090
	s_load_dword s48, s[0:1], 0xa0                             // 000000003E58: C0020C00 000000A0
	s_load_dword s49, s[0:1], 0xb0                             // 000000003E60: C0020C40 000000B0
	s_load_dword s74, s[0:1], 0xd0                             // 000000003E68: C0021280 000000D0
	s_load_dword s75, s[0:1], 0xe0                             // 000000003E70: C00212C0 000000E0
	s_load_dword s5, s[0:1], 0xf0                              // 000000003E78: C0020140 000000F0
	s_load_dword s44, s[0:1], 0x100                            // 000000003E80: C0020B00 00000100
	s_load_dword s76, s[0:1], 0x110                            // 000000003E88: C0021300 00000110
	s_load_dword s77, s[0:1], 0x120                            // 000000003E90: C0021340 00000120
	s_load_dword s6, s[0:1], 0x130                             // 000000003E98: C0020180 00000130
	s_load_dword s52, s[0:1], 0x140                            // 000000003EA0: C0020D00 00000140
	s_load_dword s50, s[0:1], 0x150                            // 000000003EA8: C0020C80 00000150
	s_load_dword s96, s[0:1], 0x160                            // 000000003EB0: C0021800 00000160
	s_load_dword s98, s[0:1], 0x180                            // 000000003EB8: C0021880 00000180
	s_load_dword s86, s[0:1], 0x190                            // 000000003EC0: C0021580 00000190
	s_load_dword s87, s[0:1], 0x1a0                            // 000000003EC8: C00215C0 000001A0
	s_load_dword s7, s[0:1], 0x1b0                             // 000000003ED0: C00201C0 000001B0
	s_load_dword s88, s[0:1], 0x1c0                            // 000000003ED8: C0021600 000001C0
	s_load_dword s89, s[0:1], 0x1d0                            // 000000003EE0: C0021640 000001D0
	s_load_dword s51, s[0:1], 0x1e0                            // 000000003EE8: C0020CC0 000001E0
	s_load_dword s90, s[0:1], 0x1f0                            // 000000003EF0: C0021680 000001F0
	s_load_dword s91, s[0:1], 0x200                            // 000000003EF8: C00216C0 00000200
	s_load_dword s92, s[0:1], 0x210                            // 000000003F00: C0021700 00000210
	s_load_dword s93, s[0:1], 0x220                            // 000000003F08: C0021740 00000220
	s_load_dword s53, s[0:1], 0x230                            // 000000003F10: C0020D40 00000230
	s_load_dword s99, s[0:1], 0x2a0                            // 000000003F18: C00218C0 000002A0
	s_load_dword s100, s[0:1], 0x2b0                           // 000000003F20: C0021900 000002B0
	v_lshrrev_b32_e32 v1, 10, v0                               // 000000003F28: 2002008A
	v_lshrrev_b32_e32 v2, 10, v1                               // 000000003F2C: 2004028A
	v_and_b32_e32 v2, 0x3ff, v2                                // 000000003F30: 260404FF 000003FF
	v_and_b32_e32 v1, 0x3ff, v1                                // 000000003F38: 260202FF 000003FF
	v_and_b32_e32 v0, 0x3ff, v0                                // 000000003F40: 260000FF 000003FF
	v_lshrrev_b32_e32 v3, 6, v0                                // 000000003F48: 20060086
	v_and_b32_e32 v0, 63, v0                                   // 000000003F4C: 260000BF
	s_mov_b32 s2, s2                                           // 000000003F50: BE820002
	s_mov_b32 s3, s3                                           // 000000003F54: BE830003
	s_mov_b32 s4, s4                                           // 000000003F58: BE840004
	v_readfirstlane_b32 s46, v3                                // 000000003F5C: 7E5C0503
	s_waitcnt lgkmcnt(0)                                       // 000000003F60: BF8CC07F
	s_mov_b32 s11, 0x20000                                     // 000000003F64: BE8B00FF 00020000
	s_mov_b32 s15, 0x20000                                     // 000000003F6C: BE8F00FF 00020000
	s_mov_b32 s19, 0x20000                                     // 000000003F74: BE9300FF 00020000
	s_mov_b32 s23, 0x20000                                     // 000000003F7C: BE9700FF 00020000
	s_mov_b32 s27, 0x20000                                     // 000000003F84: BE9B00FF 00020000
	s_mov_b32 s31, 0x20000                                     // 000000003F8C: BE9F00FF 00020000
	s_mov_b32 s35, 0x20000                                     // 000000003F94: BEA300FF 00020000
	s_mov_b32 s39, 0x20000                                     // 000000003F9C: BEA700FF 00020000
	s_mov_b32 s43, 0x20000                                     // 000000003FA4: BEAB00FF 00020000
	s_and_b32 s9, s9, 0xffff                                   // 000000003FAC: 8609FF09 0000FFFF
	s_and_b32 s13, s13, 0xffff                                 // 000000003FB4: 860DFF0D 0000FFFF
	s_and_b32 s17, s17, 0xffff                                 // 000000003FBC: 8611FF11 0000FFFF
	s_and_b32 s21, s21, 0xffff                                 // 000000003FC4: 8615FF15 0000FFFF
	s_and_b32 s25, s25, 0xffff                                 // 000000003FCC: 8619FF19 0000FFFF
	s_and_b32 s29, s29, 0xffff                                 // 000000003FD4: 861DFF1D 0000FFFF
	s_and_b32 s33, s33, 0xffff                                 // 000000003FDC: 8621FF21 0000FFFF
	s_and_b32 s37, s37, 0xffff                                 // 000000003FE4: 8625FF25 0000FFFF
	s_and_b32 s41, s41, 0xffff                                 // 000000003FEC: 8629FF29 0000FFFF
	s_or_b32 s9, s9, 0x40000                                   // 000000003FF4: 8709FF09 00040000
	s_or_b32 s13, s13, 0x40000                                 // 000000003FFC: 870DFF0D 00040000
	s_or_b32 s17, s17, 0x40000                                 // 000000004004: 8711FF11 00040000
	s_or_b32 s21, s21, 0x40000                                 // 00000000400C: 8715FF15 00040000
	s_or_b32 s25, s25, 0x40000                                 // 000000004014: 8719FF19 00040000
	s_or_b32 s29, s29, 0x40000                                 // 00000000401C: 871DFF1D 00040000
	s_or_b32 s33, s33, 0x40000                                 // 000000004024: 8721FF21 00040000
	s_or_b32 s37, s37, 0x40000                                 // 00000000402C: 8725FF25 00040000
	s_or_b32 s41, s41, 0x40000                                 // 000000004034: 8729FF29 00040000
	v_accvgpr_write_b32 a255, 0                                // 00000000403C: D3D940FF 18000080
	v_mov_b32_e32 v255, 0                                      // 000000004044: 7FFE0280
	s_mov_b32 s78, s8                                          // 000000004048: BECE0008
	s_mov_b32 s80, s12                                         // 00000000404C: BED0000C
	s_mov_b32 s82, s16                                         // 000000004050: BED20010
	s_mov_b32 s84, s20                                         // 000000004054: BED40014
	s_mov_b32 s79, s9                                          // 000000004058: BECF0009
	s_mov_b32 s81, s13                                         // 00000000405C: BED1000D
	s_mov_b32 s83, s17                                         // 000000004060: BED30011
	s_mov_b32 s85, s21                                         // 000000004064: BED50015
	s_mov_b32 s71, s3                                          // 000000004068: BEC70003
	v_cvt_f32_u32_e32 v28, s44                                 // 00000000406C: 7E380C2C
	s_sub_i32 s60, 0, s44                                      // 000000004070: 81BC2C80
	v_rcp_iflag_f32_e32 v28, v28                               // 000000004074: 7E38471C
	s_nop 0                                                    // 000000004078: BF800000
	v_mul_f32_e32 v28, 0x4f7ffffe, v28                         // 00000000407C: 0A3838FF 4F7FFFFE
	v_cvt_u32_f32_e32 v28, v28                                 // 000000004084: 7E380F1C
	v_mul_lo_u32 v29, s60, v28                                 // 000000004088: D285001D 0002383C
	v_mul_hi_u32 v29, v28, v29                                 // 000000004090: D286001D 00023B1C
	v_add_u32_e32 v28, v28, v29                                // 000000004098: 68383B1C
	v_mul_hi_u32 v28, s71, v28                                 // 00000000409C: D286001C 00023847
	v_mul_lo_u32 v29, v28, s44                                 // 0000000040A4: D285001D 0000591C
	v_sub_u32_e32 v31, s71, v29                                // 0000000040AC: 6A3E3A47
	v_add_u32_e32 v30, 1, v28                                  // 0000000040B0: 683C3881
	v_cmp_le_u32_e32 vcc, s44, v31                             // 0000000040B4: 7D963E2C
	v_subrev_u32_e32 v29, s44, v31                             // 0000000040B8: 6C3A3E2C
	s_nop 0                                                    // 0000000040BC: BF800000
	v_cndmask_b32_e32 v28, v28, v30, vcc                       // 0000000040C0: 00383D1C
	v_cndmask_b32_e32 v31, v31, v29, vcc                       // 0000000040C4: 003E3B1F
	v_add_u32_e32 v29, 1, v28                                  // 0000000040C8: 683A3881
	v_cmp_le_u32_e32 vcc, s44, v31                             // 0000000040CC: 7D963E2C
	s_nop 1                                                    // 0000000040D0: BF800001
	v_cndmask_b32_e32 v31, v28, v29, vcc                       // 0000000040D4: 003E3B1C
	s_nop 3                                                    // 0000000040D8: BF800003
	v_readfirstlane_b32 s45, v31                               // 0000000040DC: 7E5A051F
	s_nop 3                                                    // 0000000040E0: BF800003
	v_mov_b32_e32 v28, s47                                     // 0000000040E4: 7E38022F
	v_mul_f32_e32 v28, s48, v28                                // 0000000040E8: 0A383830
	s_mov_b32 s66, 0                                           // 0000000040EC: BEC20080
	s_mov_b32 s58, s49                                         // 0000000040F0: BEBA0031
	s_mov_b32 s59, 0                                           // 0000000040F4: BEBB0080
	v_mov_b32_e32 v151, 0xff800000                             // 0000000040F8: 7F2E02FF FF800000
	s_mov_b32 s63, 0x5040100                                   // 000000004100: BEBF00FF 05040100
	s_mov_b32 s64, 0x7060302                                   // 000000004108: BEC000FF 07060302
	v_readfirstlane_b32 s57, v28                               // 000000004110: 7E72051C
	v_mov_b32_e32 v30, 0x3020706                               // 000000004114: 7E3C02FF 03020706
	v_mov_b32_e32 v28, s63                                     // 00000000411C: 7E38023F
	v_and_b32_e32 v29, 1, v0                                   // 000000004120: 263A0081
	v_cmp_eq_u32_e32 vcc, 1, v29                               // 000000004124: 7D943A81
	s_mul_i32 s60, s96, 64                                     // 000000004128: 923CC060
	s_mov_b32 s67, s60                                         // 00000000412C: BEC3003C
	v_cndmask_b32_e32 v15, v28, v30, vcc                       // 000000004130: 001E3D1C
	s_mul_i32 s68, 4, s5                                       // 000000004134: 92440584
	s_mul_i32 s97, 4, s51                                      // 000000004138: 92613384
	s_mov_b32 s69, 16                                          // 00000000413C: BEC50090
	s_mul_i32 s60, s6, 0xc0                                    // 000000004140: 923CFF06 000000C0
	s_mul_i32 s60, s2, s60                                     // 000000004148: 923C3C02
	s_mul_i32 s61, s45, s76                                    // 00000000414C: 923D4C2D
	s_mul_i32 s62, s4, s77                                     // 000000004150: 923E4D04
	s_add_u32 s54, s60, s61                                    // 000000004154: 80363D3C
	s_mul_i32 s60, s2, 0xc0                                    // 000000004158: 923CFF02 000000C0
	s_sub_i32 s60, s50, s60                                    // 000000004160: 81BC3C32
	s_mul_i32 s60, s6, s60                                     // 000000004164: 923C3C06
	s_lshr_b32 s60, s60, 2                                     // 000000004168: 8F3C823C
	s_mov_b32 s14, s60                                         // 00000000416C: BE8E003C
	s_add_u32 s12, s54, s80                                    // 000000004170: 800C5036
	s_addc_u32 s13, 0, s81                                     // 000000004174: 820D5180
	s_mul_hi_u32 s61, s4, s77                                  // 000000004178: 963D4D04
	s_and_b32 s61, s61, 0xffff                                 // 00000000417C: 863DFF3D 0000FFFF
	s_add_u32 s12, s12, s62                                    // 000000004184: 800C3E0C
	s_addc_u32 s13, s13, s61                                   // 000000004188: 820D3D0D
	s_mul_i32 s60, s7, 0xc0                                    // 00000000418C: 923CFF07 000000C0
	s_mul_i32 s60, s2, s60                                     // 000000004194: 923C3C02
	s_mul_i32 s61, s45, s86                                    // 000000004198: 923D562D
	s_mul_i32 s62, s4, s87                                     // 00000000419C: 923E5704
	s_add_u32 s54, s60, s61                                    // 0000000041A0: 80363D3C
	s_mul_i32 s60, s2, 0xc0                                    // 0000000041A4: 923CFF02 000000C0
	s_sub_i32 s60, s50, s60                                    // 0000000041AC: 81BC3C32
	s_mul_i32 s60, s7, s60                                     // 0000000041B0: 923C3C07
	s_lshr_b32 s60, s60, 2                                     // 0000000041B4: 8F3C823C
	s_mov_b32 s18, s60                                         // 0000000041B8: BE92003C
	s_add_u32 s16, s54, s82                                    // 0000000041BC: 80105236
	s_addc_u32 s17, 0, s83                                     // 0000000041C0: 82115380
	s_mul_hi_u32 s61, s4, s87                                  // 0000000041C4: 963D5704
	s_and_b32 s61, s61, 0xffff                                 // 0000000041C8: 863DFF3D 0000FFFF
	s_add_u32 s16, s16, s62                                    // 0000000041D0: 80103E10
	s_addc_u32 s17, s17, s61                                   // 0000000041D4: 82113D11
	s_mul_i32 s80, s2, 0xc0                                    // 0000000041D8: 9250FF02 000000C0
	s_sub_i32 s61, s80, s99                                    // 0000000041E0: 81BD6350
	s_cmp_ge_i32 s61, 0                                        // 0000000041E4: BF03803D
	s_cselect_b32 s61, s61, 0                                  // 0000000041E8: 853D803D
	s_cmp_lt_i32 s61, s49                                      // 0000000041EC: BF04313D
	s_cselect_b32 s61, s61, s49                                // 0000000041F0: 853D313D
	s_and_b32 s59, s61, -16                                    // 0000000041F4: 863BD03D
	s_add_i32 s60, s80, 0xc0                                   // 0000000041F8: 813CFF50 000000C0
	s_add_i32 s61, s60, s100                                   // 000000004200: 813D643C
	s_cmp_ge_i32 s61, 0                                        // 000000004204: BF03803D
	s_cselect_b32 s61, s61, 0                                  // 000000004208: 853D803D
	s_cmp_lt_i32 s61, s49                                      // 00000000420C: BF04313D
	s_cselect_b32 s61, s61, s49                                // 000000004210: 853D313D
	s_mov_b32 s58, s61                                         // 000000004214: BEBA003D
	s_add_u32 s101, 16, s59                                    // 000000004218: 80653B90
	s_mul_i32 s61, s3, s74                                     // 00000000421C: 923D4A03
	s_mul_i32 s62, s4, s75                                     // 000000004220: 923E4B04
	s_mov_b32 s55, s61                                         // 000000004224: BEB7003D
	s_mul_i32 s60, s5, s59                                     // 000000004228: 923C3B05
	s_add_u32 s55, s60, s55                                    // 00000000422C: 8037373C
	s_sub_i32 s60, s58, s59                                    // 000000004230: 81BC3B3A
	s_mul_i32 s61, s5, s60                                     // 000000004234: 923D3C05
	s_lshr_b32 s61, s61, 2                                     // 000000004238: 8F3D823D
	s_mov_b32 s10, s61                                         // 00000000423C: BE8A003D
	s_add_u32 s8, s55, s78                                     // 000000004240: 80084E37
	s_addc_u32 s9, 0, s79                                      // 000000004244: 82094F80
	s_mul_hi_u32 s61, s4, s75                                  // 000000004248: 963D4B04
	s_and_b32 s61, s61, 0xffff                                 // 00000000424C: 863DFF3D 0000FFFF
	s_add_u32 s8, s8, s62                                      // 000000004254: 80083E08
	s_addc_u32 s9, s9, s61                                     // 000000004258: 82093D09
	s_mul_i32 s61, s3, s88                                     // 00000000425C: 923D5803
	s_mul_i32 s62, s4, s89                                     // 000000004260: 923E5904
	s_mov_b32 s56, s61                                         // 000000004264: BEB8003D
	s_mul_i32 s61, s51, s59                                    // 000000004268: 923D3B33
	s_add_u32 s56, s61, s56                                    // 00000000426C: 8038383D
	s_mul_i32 s61, s51, s60                                    // 000000004270: 923D3C33
	s_lshr_b32 s61, s61, 2                                     // 000000004274: 8F3D823D
	s_mov_b32 s22, s61                                         // 000000004278: BE96003D
	s_add_u32 s20, s56, s84                                    // 00000000427C: 80145438
	s_addc_u32 s21, 0, s85                                     // 000000004280: 82155580
	s_mul_hi_u32 s61, s4, s89                                  // 000000004284: 963D5904
	s_and_b32 s61, s61, 0xffff                                 // 000000004288: 863DFF3D 0000FFFF
	s_add_u32 s20, s20, s62                                    // 000000004290: 80143E14
	s_addc_u32 s21, s21, s61                                   // 000000004294: 82153D15
	s_mul_i32 s62, s4, s98                                     // 000000004298: 923E6204
	s_mul_i32 s62, s62, s49                                    // 00000000429C: 923E313E
	s_lshl_b32 s62, s62, 2                                     // 0000000042A0: 8E3E823E
	s_mul_i32 s61, s3, s49                                     // 0000000042A4: 923D3103
	s_mul_i32 s61, 4, s61                                      // 0000000042A8: 923D3D84
	s_add_u32 s65, s61, s62                                    // 0000000042AC: 80413E3D
	s_mul_i32 s60, 4, s58                                      // 0000000042B0: 923C3A84
	s_add_u32 s60, s60, s61                                    // 0000000042B4: 803C3D3C
	s_add_u32 s60, s60, s62                                    // 0000000042B8: 803C3E3C
	s_lshr_b32 s60, s60, 2                                     // 0000000042BC: 8F3C823C
	s_add_u32 s24, s65, s24                                    // 0000000042C0: 80181841
	s_addc_u32 s25, 0, s25                                     // 0000000042C4: 82191980
	s_add_u32 s28, s65, s28                                    // 0000000042C8: 801C1C41
	s_addc_u32 s29, 0, s29                                     // 0000000042CC: 821D1D80
	s_mov_b32 s26, s60                                         // 0000000042D0: BE9A003C
	s_mov_b32 s30, s60                                         // 0000000042D4: BE9E003C
	s_cmp_lt_u32 s46, 2                                        // 0000000042D8: BF0A822E
	s_cselect_b32 s24, s24, s28                                // 0000000042DC: 85181C18
	s_cselect_b32 s25, s25, s29                                // 0000000042E0: 85191D19
	s_cselect_b32 s26, s26, s30                                // 0000000042E4: 851A1E1A
	s_cselect_b32 s27, s27, s31                                // 0000000042E8: 851B1F1B
	s_mov_b32 s71, s6                                          // 0000000042EC: BEC70006
	v_lshrrev_b32_e32 v28, 4, v0                               // 0000000042F0: 20380084
	v_and_b32_e32 v29, 1, v28                                  // 0000000042F4: 263A3881
	v_lshlrev_b32_e32 v29, 1, v29                              // 0000000042F8: 243A3A81
	v_mul_i32_i24_e32 v29, s71, v29                            // 0000000042FC: 0C3A3A47
	v_and_b32_e32 v30, 2, v28                                  // 000000004300: 263C3882
	v_lshlrev_b32_e32 v30, 5, v30                              // 000000004304: 243C3C85
	v_add_u32_e32 v29, v30, v29                                // 000000004308: 683A3B1E
	v_and_b32_e32 v28, 15, v0                                  // 00000000430C: 2638008F
	v_lshlrev_b32_e32 v28, 2, v28                              // 000000004310: 24383882
	v_add_u32_e32 v1, v28, v29                                 // 000000004314: 68023B1C
	s_and_b32 s60, 1, s46                                      // 000000004318: 863C2E81
	s_mul_i32 s60, s60, s71                                    // 00000000431C: 923C473C
	s_mul_i32 s60, s60, 8                                      // 000000004320: 923C883C
	s_lshr_b32 s61, s46, 1                                     // 000000004324: 8F3D812E
	s_mul_i32 s61, s61, 0x80                                   // 000000004328: 923DFF3D 00000080
	s_add_u32 s60, s60, s61                                    // 000000004330: 803C3D3C
	v_add_u32_e32 v1, s60, v1                                  // 000000004334: 6802023C
	v_add_u32_e32 v2, s71, v1                                  // 000000004338: 68040247
	s_mul_i32 s60, 4, s71                                      // 00000000433C: 923C4784
	v_add_u32_e32 v3, s60, v1                                  // 000000004340: 6806023C
	v_add_u32_e32 v4, s60, v2                                  // 000000004344: 6808043C
	s_mov_b32 s71, s7                                          // 000000004348: BEC70007
	v_lshrrev_b32_e32 v28, 4, v0                               // 00000000434C: 20380084
	v_and_b32_e32 v29, 1, v28                                  // 000000004350: 263A3881
	v_lshlrev_b32_e32 v29, 1, v29                              // 000000004354: 243A3A81
	v_mul_i32_i24_e32 v29, s71, v29                            // 000000004358: 0C3A3A47
	v_and_b32_e32 v30, 2, v28                                  // 00000000435C: 263C3882
	v_lshlrev_b32_e32 v30, 5, v30                              // 000000004360: 243C3C85
	v_add_u32_e32 v29, v30, v29                                // 000000004364: 683A3B1E
	v_and_b32_e32 v28, 15, v0                                  // 000000004368: 2638008F
	v_lshlrev_b32_e32 v28, 2, v28                              // 00000000436C: 24383882
	v_add_u32_e32 v252, v28, v29                               // 000000004370: 69F83B1C
	s_and_b32 s60, 1, s46                                      // 000000004374: 863C2E81
	s_mul_i32 s60, s60, s71                                    // 000000004378: 923C473C
	s_mul_i32 s60, s60, 8                                      // 00000000437C: 923C883C
	s_lshr_b32 s61, s46, 1                                     // 000000004380: 8F3D812E
	s_mul_i32 s61, s61, 0x80                                   // 000000004384: 923DFF3D 00000080
	s_add_u32 s60, s60, s61                                    // 00000000438C: 803C3D3C
	v_add_u32_e32 v252, s60, v252                              // 000000004390: 69F9F83C
	v_add_u32_e32 v253, s71, v252                              // 000000004394: 69FBF847
	s_mul_i32 s60, 4, s71                                      // 000000004398: 923C4784
	v_add_u32_e32 v254, s60, v252                              // 00000000439C: 69FDF83C
	v_add_u32_e32 v255, s60, v253                              // 0000000043A0: 69FFFA3C
	v_lshrrev_b32_e32 v1, 2, v1                                // 0000000043A4: 20020282
	v_lshrrev_b32_e32 v2, 2, v2                                // 0000000043A8: 20040482
	v_lshrrev_b32_e32 v3, 2, v3                                // 0000000043AC: 20060682
	v_lshrrev_b32_e32 v4, 2, v4                                // 0000000043B0: 20080882
	v_lshrrev_b32_e32 v252, 2, v252                            // 0000000043B4: 21F9F882
	v_lshrrev_b32_e32 v253, 2, v253                            // 0000000043B8: 21FBFA82
	v_lshrrev_b32_e32 v254, 2, v254                            // 0000000043BC: 21FDFC82
	v_lshrrev_b32_e32 v255, 2, v255                            // 0000000043C0: 21FFFE82
	s_mul_i32 s60, 4, s59                                      // 0000000043C4: 923C3B84
	v_and_b32_e32 v9, 15, v0                                   // 0000000043C8: 2612008F
	v_lshlrev_b32_e32 v9, 2, v9                                // 0000000043CC: 24121282
	v_add_u32_e32 v9, s60, v9                                  // 0000000043D0: 6812123C
	v_lshrrev_b32_e32 v9, 2, v9                                // 0000000043D4: 20121282
	s_mov_b32 s70, s52                                         // 0000000043D8: BEC60034
	v_lshrrev_b32_e32 v28, 4, v0                               // 0000000043DC: 20380084
	v_mul_i32_i24_e32 v5, s70, v28                             // 0000000043E0: 0C0A3846
	v_lshrrev_b32_e32 v5, 2, v5                                // 0000000043E4: 200A0A82
	v_and_b32_e32 v28, 15, v0                                  // 0000000043E8: 2638008F
	v_lshlrev_b32_e32 v29, 2, v28                              // 0000000043EC: 243A3882
	v_add_u32_e32 v5, v29, v5                                  // 0000000043F0: 680A0B1D
	s_mul_i32 s60, 16, s70                                     // 0000000043F4: 923C4690
	s_mul_i32 s60, s46, s60                                    // 0000000043F8: 923C3C2E
	v_lshlrev_b32_e32 v5, 2, v5                                // 0000000043FC: 240A0A82
	v_add_u32_e32 v5, s60, v5                                  // 000000004400: 680A0A3C
	s_mul_i32 s60, 0xc0, s52                                   // 000000004404: 923C34FF 000000C0
	s_mul_i32 s60, s2, s60                                     // 00000000440C: 923C3C02
	s_mul_i32 s61, s3, s90                                     // 000000004410: 923D5A03
	s_mul_i32 s62, s4, s91                                     // 000000004414: 923E5B04
	s_add_u32 s60, s60, s61                                    // 000000004418: 803C3D3C
	v_add_u32_e32 v5, s60, v5                                  // 00000000441C: 680A0A3C
	v_lshrrev_b32_e32 v5, 2, v5                                // 000000004420: 200A0A82
	s_mul_i32 s60, s50, s52                                    // 000000004424: 923C3432
	s_add_u32 s60, s60, s61                                    // 000000004428: 803C3D3C
	s_lshr_b32 s60, s60, 2                                     // 00000000442C: 8F3C823C
	s_mov_b32 s38, s60                                         // 000000004430: BEA6003C
	s_mul_hi_u32 s61, s4, s91                                  // 000000004434: 963D5B04
	s_and_b32 s61, s61, 0xffff                                 // 000000004438: 863DFF3D 0000FFFF
	s_add_u32 s36, s62, s36                                    // 000000004440: 8024243E
	s_addc_u32 s37, s61, s37                                   // 000000004444: 8225253D
	s_mov_b32 s70, s53                                         // 000000004448: BEC60035
	v_lshrrev_b32_e32 v28, 4, v0                               // 00000000444C: 20380084
	v_mul_i32_i24_e32 v6, s70, v28                             // 000000004450: 0C0C3846
	v_lshrrev_b32_e32 v6, 2, v6                                // 000000004454: 200C0C82
	v_and_b32_e32 v28, 15, v0                                  // 000000004458: 2638008F
	v_lshlrev_b32_e32 v29, 2, v28                              // 00000000445C: 243A3882
	v_add_u32_e32 v6, v29, v6                                  // 000000004460: 680C0D1D
	s_mul_i32 s60, 16, s70                                     // 000000004464: 923C4690
	s_mul_i32 s60, s46, s60                                    // 000000004468: 923C3C2E
	v_lshlrev_b32_e32 v6, 2, v6                                // 00000000446C: 240C0C82
	v_add_u32_e32 v6, s60, v6                                  // 000000004470: 680C0C3C
	s_mul_i32 s60, 0xc0, s53                                   // 000000004474: 923C35FF 000000C0
	s_mul_i32 s60, s2, s60                                     // 00000000447C: 923C3C02
	s_mul_i32 s61, s3, s92                                     // 000000004480: 923D5C03
	s_mul_i32 s62, s4, s93                                     // 000000004484: 923E5D04
	s_add_u32 s60, s60, s61                                    // 000000004488: 803C3D3C
	v_add_u32_e32 v6, s60, v6                                  // 00000000448C: 680C0C3C
	v_lshrrev_b32_e32 v6, 2, v6                                // 000000004490: 200C0C82
	s_mul_i32 s60, s50, s53                                    // 000000004494: 923C3532
	s_add_u32 s60, s60, s61                                    // 000000004498: 803C3D3C
	s_lshr_b32 s60, s60, 2                                     // 00000000449C: 8F3C823C
	s_mov_b32 s42, s60                                         // 0000000044A0: BEAA003C
	s_mul_hi_u32 s61, s4, s93                                  // 0000000044A4: 963D5D04
	s_and_b32 s61, s61, 0xffff                                 // 0000000044A8: 863DFF3D 0000FFFF
	s_add_u32 s40, s62, s40                                    // 0000000044B0: 8028283E
	s_addc_u32 s41, s61, s41                                   // 0000000044B4: 8229293D
	v_lshrrev_b32_e32 v28, 5, v0                               // 0000000044B8: 20380085
	v_mul_i32_i24_e64 v29, s96, 2                              // 0000000044BC: D106001D 00010460
	v_mul_i32_i24_e32 v7, v29, v28                             // 0000000044C4: 0C0E391D
	v_and_b32_e32 v28, 31, v0                                  // 0000000044C8: 2638009F
	v_add_u32_e32 v7, v28, v7                                  // 0000000044CC: 680E0F1C
	s_mul_i32 s60, 4, s96                                      // 0000000044D0: 923C6084
	s_mul_i32 s60, s46, s60                                    // 0000000044D4: 923C3C2E
	v_add_u32_e32 v7, s60, v7                                  // 0000000044D8: 680E0E3C
	v_lshlrev_b32_e32 v7, 2, v7                                // 0000000044DC: 240E0E82
	v_mul_i32_i24_e32 v29, 2, v29                              // 0000000044E0: 0C3A3A82
	v_add_u32_e32 v8, v29, v7                                  // 0000000044E4: 68100F1D
	s_mul_i32 s60, 4, s59                                      // 0000000044E8: 923C3B84
	s_add_u32 s60, s65, s60                                    // 0000000044EC: 803C3C41
	s_mul_i32 s72, s96, s60                                    // 0000000044F0: 92483C60
	s_mul_hi_u32 s62, s96, s60                                 // 0000000044F4: 963E3C60
	s_and_b32 s62, s62, 0xffff                                 // 0000000044F8: 863EFF3E 0000FFFF
	s_add_u32 s32, s72, s32                                    // 000000004500: 80202048
	s_addc_u32 s33, s62, s33                                   // 000000004504: 8221213E
	s_sub_i32 s60, s58, s59                                    // 000000004508: 81BC3B3A
	s_mul_i32 s60, s96, s60                                    // 00000000450C: 923C3C60
	s_lshl_b32 s60, s60, 2                                     // 000000004510: 8E3C823C
	s_mov_b32 s34, s60                                         // 000000004514: BEA2003C
	s_mul_i32 s60, 3, s2                                       // 000000004518: 923C0283
	s_add_u32 s61, s50, 63                                     // 00000000451C: 803DBF32
	s_lshr_b32 s61, s61, 6                                     // 000000004520: 8F3D863D
	s_sub_i32 s73, s61, s60                                    // 000000004524: 81C93C3D
	s_cmp_lt_i32 s73, 3                                        // 000000004528: BF048349
	s_cselect_b32 s73, s73, 3                                  // 00000000452C: 85498349
	v_mov_b32_e32 v249, 0xffff0000                             // 000000004530: 7FF202FF FFFF0000
	v_mov_b32_e32 v250, 0x7fff0000                             // 000000004538: 7FF402FF 7FFF0000
	v_mov_b32_e32 v251, 0x7fff                                 // 000000004540: 7FF602FF 00007FFF
	s_lshr_b32 s60, s46, 1                                     // 000000004548: 8F3C812E
	s_lshl_b32 s60, s60, 8                                     // 00000000454C: 8E3C883C
	s_add_u32 s76, 0xc600, s60                                 // 000000004550: 804C3CFF 0000C600
	s_add_u32 s77, 0x200, s76                                  // 000000004558: 804D4CFF 00000200
	s_mov_b32 m0, s76                                          // 000000004560: BEFC004C
	v_lshrrev_b32_e32 v28, 2, v0                               // 000000004564: 20380082
	v_and_b32_e32 v29, 3, v28                                  // 000000004568: 263A3883
	v_lshrrev_b32_e32 v30, 3, v28                              // 00000000456C: 203C3883
	v_lshlrev_b32_e32 v30, 2, v30                              // 000000004570: 243C3C82
	v_add_u32_e32 v28, v30, v29                                // 000000004574: 68383B1E
	s_lshr_b32 s60, s46, 1                                     // 000000004578: 8F3C812E
	s_sub_i32 s60, 1, s60                                      // 00000000457C: 81BC3C81
	v_mul_i32_i24_e64 v29, s60, 8                              // 000000004580: D106001D 0001103C
	v_mov_b32_e32 v30, s96                                     // 000000004588: 7E3C0260
	v_sub_u32_e64 v30, v30, 64                                 // 00000000458C: D135001E 0001811E
	v_lshrrev_b32_e32 v30, 3, v30                              // 000000004594: 203C3C83
	v_add_u32_e32 v29, v30, v29                                // 000000004598: 683A3B1E
	v_cmp_lt_u32_e64 s[88:89], v28, v29                        // 00000000459C: D0C90058 00023B1C
	s_mov_b32 s86, -1                                          // 0000000045A4: BED600C1
	s_mov_b32 s87, -1                                          // 0000000045A8: BED700C1
	v_and_b32_e32 v28, 15, v0                                  // 0000000045AC: 2638008F
	v_mov_b32_e32 v29, s96                                     // 0000000045B0: 7E3A0260
	v_lshrrev_b32_e32 v29, 3, v29                              // 0000000045B4: 203A3A83
	v_cmp_lt_u32_e64 s[90:91], v28, v29                        // 0000000045B8: D0C9005A 00023B1C
	s_sub_i32 s94, s50, s80                                    // 0000000045C0: 81DE5032
	v_and_b32_e32 v28, 31, v0                                  // 0000000045C4: 2638009F
	v_lshrrev_b32_e32 v28, 1, v28                              // 0000000045C8: 20383881
	v_and_b32_e32 v29, 1, v28                                  // 0000000045CC: 263A3881
	v_lshlrev_b32_e32 v29, 4, v29                              // 0000000045D0: 243A3A84
	v_and_b32_e32 v30, 2, v28                                  // 0000000045D4: 263C3882
	v_lshlrev_b32_e32 v30, 2, v30                              // 0000000045D8: 243C3C82
	v_add_u32_e32 v29, v30, v29                                // 0000000045DC: 683A3B1E
	v_and_b32_e32 v30, 12, v28                                 // 0000000045E0: 263C388C
	v_lshrrev_b32_e32 v30, 1, v30                              // 0000000045E4: 203C3C81
	v_add_u32_e32 v29, v30, v29                                // 0000000045E8: 683A3B1E
	v_lshrrev_b32_e32 v28, 5, v0                               // 0000000045EC: 20380085
	v_mul_i32_i24_e32 v30, 0x80, v28                           // 0000000045F0: 0C3C38FF 00000080
	v_add_u32_e32 v29, v30, v29                                // 0000000045F8: 683A3B1E
	v_and_b32_e32 v30, 1, v0                                   // 0000000045FC: 263C0081
	v_add_u32_e32 v11, v30, v29                                // 000000004600: 68163B1E
	s_and_b32 s60, 1, s46                                      // 000000004604: 863C2E81
	s_mul_i32 s60, s60, 64                                     // 000000004608: 923CC03C
	s_lshr_b32 s61, s46, 1                                     // 00000000460C: 8F3D812E
	s_mul_i32 s61, s61, 0x220                                  // 000000004610: 923DFF3D 00000220
	s_add_u32 s60, s60, s61                                    // 000000004618: 803C3D3C
	v_add_u32_e32 v11, s60, v11                                // 00000000461C: 6816163C
	v_lshlrev_b32_e32 v11, 2, v11                              // 000000004620: 24161682
	v_lshrrev_b32_e32 v28, 4, v0                               // 000000004624: 20380084
	v_and_b32_e32 v29, 1, v28                                  // 000000004628: 263A3881
	v_lshlrev_b32_e32 v29, 4, v29                              // 00000000462C: 243A3A84
	v_and_b32_e32 v30, 2, v28                                  // 000000004630: 263C3882
	v_mul_i32_i24_e32 v30, 4, v30                              // 000000004634: 0C3C3C84
	v_add_u32_e32 v29, v30, v29                                // 000000004638: 683A3B1E
	v_and_b32_e32 v28, 15, v0                                  // 00000000463C: 2638008F
	v_lshrrev_b32_e32 v30, 2, v28                              // 000000004640: 203C3882
	v_lshlrev_b32_e32 v30, 5, v30                              // 000000004644: 243C3C85
	v_add_u32_e32 v29, v30, v29                                // 000000004648: 683A3B1E
	v_and_b32_e32 v28, 3, v0                                   // 00000000464C: 26380083
	v_and_b32_e32 v30, 1, v28                                  // 000000004650: 263C3881
	v_mul_i32_i24_e32 v30, 0x108, v30                          // 000000004654: 0C3C3CFF 00000108
	v_add_u32_e32 v29, v30, v29                                // 00000000465C: 683A3B1E
	v_and_b32_e32 v30, 2, v28                                  // 000000004660: 263C3882
	v_lshlrev_b32_e32 v30, 1, v30                              // 000000004664: 243C3C81
	v_add_u32_e32 v10, v30, v29                                // 000000004668: 68143B1E
	v_lshlrev_b32_e32 v10, 2, v10                              // 00000000466C: 24141482
	s_mul_i32 s60, s46, 0x1100                                 // 000000004670: 923CFF2E 00001100
	v_add_u32_e32 v22, s60, v10                                // 000000004678: 682C143C
	v_lshrrev_b32_e32 v28, 5, v0                               // 00000000467C: 20380085
	v_mul_i32_i24_e32 v13, 0x80, v28                           // 000000004680: 0C1A38FF 00000080
	v_and_b32_e32 v28, 31, v0                                  // 000000004688: 2638009F
	v_and_b32_e32 v29, 7, v28                                  // 00000000468C: 263A3887
	v_and_b32_e32 v30, 1, v29                                  // 000000004690: 263C3A81
	v_lshlrev_b32_e32 v30, 2, v30                              // 000000004694: 243C3C82
	v_add_u32_e32 v13, v30, v13                                // 000000004698: 681A1B1E
	v_and_b32_e32 v30, 2, v29                                  // 00000000469C: 263C3A82
	v_lshlrev_b32_e32 v30, 3, v30                              // 0000000046A0: 243C3C83
	v_add_u32_e32 v13, v30, v13                                // 0000000046A4: 681A1B1E
	v_and_b32_e32 v30, 4, v29                                  // 0000000046A8: 263C3A84
	v_lshlrev_b32_e32 v30, 1, v30                              // 0000000046AC: 243C3C81
	v_add_u32_e32 v13, v30, v13                                // 0000000046B0: 681A1B1E
	v_lshrrev_b32_e32 v29, 3, v28                              // 0000000046B4: 203A3883
	v_and_b32_e32 v30, 1, v29                                  // 0000000046B8: 263C3A81
	v_lshlrev_b32_e32 v30, 1, v30                              // 0000000046BC: 243C3C81
	v_add_u32_e32 v13, v30, v13                                // 0000000046C0: 681A1B1E
	v_and_b32_e32 v30, 2, v29                                  // 0000000046C4: 263C3A82
	v_lshrrev_b32_e32 v30, 1, v30                              // 0000000046C8: 203C3C81
	v_add_u32_e32 v13, v30, v13                                // 0000000046CC: 681A1B1E
	s_and_b32 s60, 1, s46                                      // 0000000046D0: 863C2E81
	s_mul_i32 s60, s60, 64                                     // 0000000046D4: 923CC03C
	s_lshr_b32 s61, s46, 1                                     // 0000000046D8: 8F3D812E
	s_mul_i32 s61, s61, 0x220                                  // 0000000046DC: 923DFF3D 00000220
	s_add_u32 s60, s60, s61                                    // 0000000046E4: 803C3D3C
	v_add_u32_e32 v13, s60, v13                                // 0000000046E8: 681A1A3C
	v_lshlrev_b32_e32 v13, 2, v13                              // 0000000046EC: 241A1A82
	v_and_b32_e32 v28, 15, v0                                  // 0000000046F0: 2638008F
	v_and_b32_e32 v30, 1, v28                                  // 0000000046F4: 263C3881
	v_mul_i32_i24_e32 v12, 0x108, v30                          // 0000000046F8: 0C183CFF 00000108
	v_and_b32_e32 v30, 2, v28                                  // 000000004700: 263C3882
	v_lshlrev_b32_e32 v30, 1, v30                              // 000000004704: 243C3C81
	v_add_u32_e32 v12, v30, v12                                // 000000004708: 6818191E
	v_and_b32_e32 v30, 4, v28                                  // 00000000470C: 263C3884
	v_lshlrev_b32_e32 v30, 2, v30                              // 000000004710: 243C3C82
	v_add_u32_e32 v12, v30, v12                                // 000000004714: 6818191E
	v_and_b32_e32 v30, 8, v28                                  // 000000004718: 263C3888
	v_add_u32_e32 v12, v30, v12                                // 00000000471C: 6818191E
	v_lshrrev_b32_e32 v28, 4, v0                               // 000000004720: 20380084
	v_and_b32_e32 v30, 1, v28                                  // 000000004724: 263C3881
	v_lshlrev_b32_e32 v30, 5, v30                              // 000000004728: 243C3C85
	v_add_u32_e32 v12, v30, v12                                // 00000000472C: 6818191E
	v_and_b32_e32 v29, 2, v28                                  // 000000004730: 263A3882
	v_mul_i32_i24_e32 v30, 32, v29                             // 000000004734: 0C3C3AA0
	v_mul_i32_i24_e32 v29, 0x220, v29                          // 000000004738: 0C3A3AFF 00000220
	v_add_u32_e32 v23, v29, v12                                // 000000004740: 682E191D
	v_add_u32_e32 v12, v30, v12                                // 000000004744: 6818191E
	v_lshlrev_b32_e32 v12, 2, v12                              // 000000004748: 24181882
	v_lshlrev_b32_e32 v23, 2, v23                              // 00000000474C: 242E2E82
	s_and_b32 s60, 1, s46                                      // 000000004750: 863C2E81
	s_mul_i32 s60, s60, 0x200                                  // 000000004754: 923CFF3C 00000200
	s_lshr_b32 s61, s46, 1                                     // 00000000475C: 8F3D812E
	s_mul_i32 s61, s61, 0x880                                  // 000000004760: 923DFF3D 00000880
	s_add_u32 s60, s60, s61                                    // 000000004768: 803C3D3C
	v_add_u32_e32 v23, s60, v23                                // 00000000476C: 682E2E3C
	v_lshrrev_b32_e32 v28, 4, v0                               // 000000004770: 20380084
	v_mul_i32_i24_e32 v21, 4, v28                              // 000000004774: 0C2A3884
	v_and_b32_e32 v29, 3, v0                                   // 000000004778: 263A0083
	v_add_u32_e32 v21, v29, v21                                // 00000000477C: 682A2B1D
	v_lshlrev_b32_e32 v21, 2, v21                              // 000000004780: 242A2A82
	v_lshrrev_b32_e32 v28, 4, v0                               // 000000004784: 20380084
	v_and_b32_e32 v29, 1, v28                                  // 000000004788: 263A3881
	v_mul_i32_i24_e32 v19, 0x100, v29                          // 00000000478C: 0C263AFF 00000100
	v_and_b32_e32 v29, 2, v28                                  // 000000004794: 263A3882
	v_mul_i32_i24_e32 v29, 64, v29                             // 000000004798: 0C3A3AC0
	v_add_u32_e32 v19, v29, v19                                // 00000000479C: 6826271D
	v_and_b32_e32 v28, 15, v0                                  // 0000000047A0: 2638008F
	v_mul_i32_i24_e32 v29, 2, v28                              // 0000000047A4: 0C3A3882
	v_add_u32_e32 v19, v29, v19                                // 0000000047A8: 6826271D
	s_mul_i32 s60, s46, 32                                     // 0000000047AC: 923CA02E
	v_add_u32_e32 v19, s60, v19                                // 0000000047B0: 6826263C
	v_lshlrev_b32_e32 v19, 2, v19                              // 0000000047B4: 24262682
	v_lshlrev_b32_e32 v20, 1, v0                               // 0000000047B8: 24280081
	s_mul_i32 s60, s46, 0x200                                  // 0000000047BC: 923CFF2E 00000200
	v_add_u32_e32 v20, s60, v20                                // 0000000047C4: 6828283C
	v_lshlrev_b32_e32 v20, 2, v20                              // 0000000047C8: 24282882
	v_lshrrev_b32_e32 v28, 5, v0                               // 0000000047CC: 20380085
	v_mul_i32_i24_e32 v17, 64, v28                             // 0000000047D0: 0C2238C0
	v_and_b32_e32 v28, 31, v0                                  // 0000000047D4: 2638009F
	v_and_b32_e32 v28, 3, v28                                  // 0000000047D8: 26383883
	v_and_b32_e32 v29, 1, v28                                  // 0000000047DC: 263A3881
	v_mul_i32_i24_e32 v29, 4, v29                              // 0000000047E0: 0C3A3A84
	v_add_u32_e32 v17, v29, v17                                // 0000000047E4: 6822231D
	v_and_b32_e32 v29, 2, v28                                  // 0000000047E8: 263A3882
	v_mul_i32_i24_e32 v29, 0x44, v29                           // 0000000047EC: 0C3A3AFF 00000044
	v_add_u32_e32 v17, v29, v17                                // 0000000047F4: 6822231D
	v_and_b32_e32 v28, 31, v0                                  // 0000000047F8: 2638009F
	v_lshrrev_b32_e32 v28, 2, v28                              // 0000000047FC: 20383882
	v_lshrrev_b32_e32 v30, 2, v28                              // 000000004800: 203C3882
	v_mul_i32_i24_e32 v29, 16, v30                             // 000000004804: 0C3A3C90
	v_add_u32_e32 v17, v29, v17                                // 000000004808: 6822231D
	v_and_b32_e32 v29, 2, v28                                  // 00000000480C: 263A3882
	v_lshlrev_b32_e32 v29, 4, v29                              // 000000004810: 243A3A84
	v_add_u32_e32 v17, v29, v17                                // 000000004814: 6822231D
	v_and_b32_e32 v29, 1, v28                                  // 000000004818: 263A3881
	v_xor_b32_e32 v29, v30, v29                                // 00000000481C: 2A3A3B1E
	v_mul_i32_i24_e32 v29, 8, v29                              // 000000004820: 0C3A3A88
	v_add_u32_e32 v17, v29, v17                                // 000000004824: 6822231D
	v_lshlrev_b32_e32 v17, 2, v17                              // 000000004828: 24222282
	v_lshrrev_b32_e32 v28, 5, v0                               // 00000000482C: 20380085
	v_mul_i32_i24_e32 v18, 32, v28                             // 000000004830: 0C2438A0
	v_and_b32_e32 v28, 31, v0                                  // 000000004834: 2638009F
	v_and_b32_e32 v28, 3, v28                                  // 000000004838: 26383883
	v_and_b32_e32 v29, 1, v28                                  // 00000000483C: 263A3881
	v_mul_i32_i24_e32 v29, 4, v29                              // 000000004840: 0C3A3A84
	v_add_u32_e32 v18, v29, v18                                // 000000004844: 6824251D
	v_and_b32_e32 v29, 2, v28                                  // 000000004848: 263A3882
	v_lshrrev_b32_e32 v29, 1, v29                              // 00000000484C: 203A3A81
	v_add_u32_e32 v18, v29, v18                                // 000000004850: 6824251D
	v_and_b32_e32 v28, 31, v0                                  // 000000004854: 2638009F
	v_lshrrev_b32_e32 v28, 2, v28                              // 000000004858: 20383882
	v_and_b32_e32 v30, 1, v28                                  // 00000000485C: 263C3881
	v_mul_i32_i24_e32 v29, 16, v30                             // 000000004860: 0C3A3C90
	v_add_u32_e32 v18, v29, v18                                // 000000004864: 6824251D
	v_and_b32_e32 v29, 2, v28                                  // 000000004868: 263A3882
	v_add_u32_e32 v18, v29, v18                                // 00000000486C: 6824251D
	v_lshrrev_b32_e32 v29, 2, v28                              // 000000004870: 203A3882
	v_xor_b32_e32 v29, v30, v29                                // 000000004874: 2A3A3B1E
	v_mul_i32_i24_e32 v29, 8, v29                              // 000000004878: 0C3A3A88
	v_add_u32_e32 v18, v29, v18                                // 00000000487C: 6824251D
	s_and_b32 s60, 1, s46                                      // 000000004880: 863C2E81
	s_mul_i32 s60, s60, 64                                     // 000000004884: 923CC03C
	s_lshr_b32 s61, s46, 1                                     // 000000004888: 8F3D812E
	s_mul_i32 s61, s61, 0x120                                  // 00000000488C: 923DFF3D 00000120
	s_add_u32 s60, s60, s61                                    // 000000004894: 803C3D3C
	v_add_u32_e32 v18, s60, v18                                // 000000004898: 6824243C
	v_lshlrev_b32_e32 v18, 2, v18                              // 00000000489C: 24242482
	v_mov_b32_e32 v152, 0                                      // 0000000048A0: 7F300280
	s_mov_b64 exec, s[88:89]                                   // 0000000048A4: BEFE0158
	buffer_load_dword v152, v1, s[12:15], 0 idxen              // 0000000048A8: E0502000 80039801
	s_mov_b64 exec, s[86:87]                                   // 0000000048B0: BEFE0156
	v_mov_b32_e32 v153, 0                                      // 0000000048B4: 7F320280
	s_mov_b64 exec, s[88:89]                                   // 0000000048B8: BEFE0158
	buffer_load_dword v153, v2, s[12:15], 0 idxen              // 0000000048BC: E0502000 80039902
	s_mov_b64 exec, s[86:87]                                   // 0000000048C4: BEFE0156
	v_mov_b32_e32 v154, 0                                      // 0000000048C8: 7F340280
	s_mov_b64 exec, s[88:89]                                   // 0000000048CC: BEFE0158
	buffer_load_dword v154, v3, s[12:15], 0 idxen              // 0000000048D0: E0502000 80039A03
	s_mov_b64 exec, s[86:87]                                   // 0000000048D8: BEFE0156
	v_mov_b32_e32 v155, 0                                      // 0000000048DC: 7F360280
	s_mov_b64 exec, s[88:89]                                   // 0000000048E0: BEFE0158
	buffer_load_dword v155, v4, s[12:15], 0 idxen              // 0000000048E4: E0502000 80039B04
	s_mov_b64 exec, s[86:87]                                   // 0000000048EC: BEFE0156
	s_mul_i32 s60, 4, s6                                       // 0000000048F0: 923C0684
	s_cmp_lt_i32 0, s73                                        // 0000000048F4: BF044980
	s_cselect_b32 s60, s60, 0                                  // 0000000048F8: 853C803C
	v_add_u32_e32 v1, s60, v1                                  // 0000000048FC: 6802023C
	v_add_u32_e32 v2, s60, v2                                  // 000000004900: 6804043C
	v_add_u32_e32 v3, s60, v3                                  // 000000004904: 6806063C
	v_add_u32_e32 v4, s60, v4                                  // 000000004908: 6808083C
	v_mov_b32_e32 v156, 0                                      // 00000000490C: 7F380280
	s_mov_b64 exec, s[88:89]                                   // 000000004910: BEFE0158
	buffer_load_dword v156, v1, s[12:15], 0 idxen              // 000000004914: E0502000 80039C01
	s_mov_b64 exec, s[86:87]                                   // 00000000491C: BEFE0156
	v_mov_b32_e32 v157, 0                                      // 000000004920: 7F3A0280
	s_mov_b64 exec, s[88:89]                                   // 000000004924: BEFE0158
	buffer_load_dword v157, v2, s[12:15], 0 idxen              // 000000004928: E0502000 80039D02
	s_mov_b64 exec, s[86:87]                                   // 000000004930: BEFE0156
	v_mov_b32_e32 v158, 0                                      // 000000004934: 7F3C0280
	s_mov_b64 exec, s[88:89]                                   // 000000004938: BEFE0158
	buffer_load_dword v158, v3, s[12:15], 0 idxen              // 00000000493C: E0502000 80039E03
	s_mov_b64 exec, s[86:87]                                   // 000000004944: BEFE0156
	v_mov_b32_e32 v159, 0                                      // 000000004948: 7F3E0280
	s_mov_b64 exec, s[88:89]                                   // 00000000494C: BEFE0158
	buffer_load_dword v159, v4, s[12:15], 0 idxen              // 000000004950: E0502000 80039F04
	s_mov_b64 exec, s[86:87]                                   // 000000004958: BEFE0156
	s_mul_i32 s60, 4, s6                                       // 00000000495C: 923C0684
	s_cmp_lt_i32 0, s73                                        // 000000004960: BF044980
	s_cselect_b32 s60, s60, 0                                  // 000000004964: 853C803C
	v_add_u32_e32 v1, s60, v1                                  // 000000004968: 6802023C
	v_add_u32_e32 v2, s60, v2                                  // 00000000496C: 6804043C
	v_add_u32_e32 v3, s60, v3                                  // 000000004970: 6806063C
	v_add_u32_e32 v4, s60, v4                                  // 000000004974: 6808083C
	v_mov_b32_e32 v160, 0                                      // 000000004978: 7F400280
	s_mov_b64 exec, s[88:89]                                   // 00000000497C: BEFE0158
	buffer_load_dword v160, v1, s[12:15], 0 idxen              // 000000004980: E0502000 8003A001
	s_mov_b64 exec, s[86:87]                                   // 000000004988: BEFE0156
	v_mov_b32_e32 v161, 0                                      // 00000000498C: 7F420280
	s_mov_b64 exec, s[88:89]                                   // 000000004990: BEFE0158
	buffer_load_dword v161, v2, s[12:15], 0 idxen              // 000000004994: E0502000 8003A102
	s_mov_b64 exec, s[86:87]                                   // 00000000499C: BEFE0156
	v_mov_b32_e32 v162, 0                                      // 0000000049A0: 7F440280
	s_mov_b64 exec, s[88:89]                                   // 0000000049A4: BEFE0158
	buffer_load_dword v162, v3, s[12:15], 0 idxen              // 0000000049A8: E0502000 8003A203
	s_mov_b64 exec, s[86:87]                                   // 0000000049B0: BEFE0156
	v_mov_b32_e32 v163, 0                                      // 0000000049B4: 7F460280
	s_mov_b64 exec, s[88:89]                                   // 0000000049B8: BEFE0158
	buffer_load_dword v163, v4, s[12:15], 0 idxen              // 0000000049BC: E0502000 8003A304
	s_mov_b64 exec, s[86:87]                                   // 0000000049C4: BEFE0156
	s_mul_i32 s60, 4, s6                                       // 0000000049C8: 923C0684
	s_cmp_lt_i32 0, s73                                        // 0000000049CC: BF044980
	s_cselect_b32 s60, s60, 0                                  // 0000000049D0: 853C803C
	v_add_u32_e32 v1, s60, v1                                  // 0000000049D4: 6802023C
	v_add_u32_e32 v2, s60, v2                                  // 0000000049D8: 6804043C
	v_add_u32_e32 v3, s60, v3                                  // 0000000049DC: 6806063C
	v_add_u32_e32 v4, s60, v4                                  // 0000000049E0: 6808083C
	v_mov_b32_e32 v164, 0                                      // 0000000049E4: 7F480280
	s_mov_b64 exec, s[88:89]                                   // 0000000049E8: BEFE0158
	buffer_load_dword v164, v1, s[12:15], 0 idxen              // 0000000049EC: E0502000 8003A401
	s_mov_b64 exec, s[86:87]                                   // 0000000049F4: BEFE0156
	v_mov_b32_e32 v165, 0                                      // 0000000049F8: 7F4A0280
	s_mov_b64 exec, s[88:89]                                   // 0000000049FC: BEFE0158
	buffer_load_dword v165, v2, s[12:15], 0 idxen              // 000000004A00: E0502000 8003A502
	s_mov_b64 exec, s[86:87]                                   // 000000004A08: BEFE0156
	v_mov_b32_e32 v166, 0                                      // 000000004A0C: 7F4C0280
	s_mov_b64 exec, s[88:89]                                   // 000000004A10: BEFE0158
	buffer_load_dword v166, v3, s[12:15], 0 idxen              // 000000004A14: E0502000 8003A603
	s_mov_b64 exec, s[86:87]                                   // 000000004A1C: BEFE0156
	v_mov_b32_e32 v167, 0                                      // 000000004A20: 7F4E0280
	s_mov_b64 exec, s[88:89]                                   // 000000004A24: BEFE0158
	buffer_load_dword v167, v4, s[12:15], 0 idxen              // 000000004A28: E0502000 8003A704
	s_mov_b64 exec, s[86:87]                                   // 000000004A30: BEFE0156
	s_mul_i32 s60, 4, s6                                       // 000000004A34: 923C0684
	s_cmp_lt_i32 1, s73                                        // 000000004A38: BF044981
	s_cselect_b32 s60, s60, 0                                  // 000000004A3C: 853C803C
	v_add_u32_e32 v1, s60, v1                                  // 000000004A40: 6802023C
	v_add_u32_e32 v2, s60, v2                                  // 000000004A44: 6804043C
	v_add_u32_e32 v3, s60, v3                                  // 000000004A48: 6806063C
	v_add_u32_e32 v4, s60, v4                                  // 000000004A4C: 6808083C
	v_mov_b32_e32 v168, 0                                      // 000000004A50: 7F500280
	s_mov_b64 exec, s[88:89]                                   // 000000004A54: BEFE0158
	buffer_load_dword v168, v1, s[12:15], 0 idxen              // 000000004A58: E0502000 8003A801
	s_mov_b64 exec, s[86:87]                                   // 000000004A60: BEFE0156
	v_mov_b32_e32 v169, 0                                      // 000000004A64: 7F520280
	s_mov_b64 exec, s[88:89]                                   // 000000004A68: BEFE0158
	buffer_load_dword v169, v2, s[12:15], 0 idxen              // 000000004A6C: E0502000 8003A902
	s_mov_b64 exec, s[86:87]                                   // 000000004A74: BEFE0156
	v_mov_b32_e32 v170, 0                                      // 000000004A78: 7F540280
	s_mov_b64 exec, s[88:89]                                   // 000000004A7C: BEFE0158
	buffer_load_dword v170, v3, s[12:15], 0 idxen              // 000000004A80: E0502000 8003AA03
	s_mov_b64 exec, s[86:87]                                   // 000000004A88: BEFE0156
	v_mov_b32_e32 v171, 0                                      // 000000004A8C: 7F560280
	s_mov_b64 exec, s[88:89]                                   // 000000004A90: BEFE0158
	buffer_load_dword v171, v4, s[12:15], 0 idxen              // 000000004A94: E0502000 8003AB04
	s_mov_b64 exec, s[86:87]                                   // 000000004A9C: BEFE0156
	s_mul_i32 s60, 4, s6                                       // 000000004AA0: 923C0684
	s_cmp_lt_i32 1, s73                                        // 000000004AA4: BF044981
	s_cselect_b32 s60, s60, 0                                  // 000000004AA8: 853C803C
	v_add_u32_e32 v1, s60, v1                                  // 000000004AAC: 6802023C
	v_add_u32_e32 v2, s60, v2                                  // 000000004AB0: 6804043C
	v_add_u32_e32 v3, s60, v3                                  // 000000004AB4: 6806063C
	v_add_u32_e32 v4, s60, v4                                  // 000000004AB8: 6808083C
	v_mov_b32_e32 v172, 0                                      // 000000004ABC: 7F580280
	s_mov_b64 exec, s[88:89]                                   // 000000004AC0: BEFE0158
	buffer_load_dword v172, v1, s[12:15], 0 idxen              // 000000004AC4: E0502000 8003AC01
	s_mov_b64 exec, s[86:87]                                   // 000000004ACC: BEFE0156
	v_mov_b32_e32 v173, 0                                      // 000000004AD0: 7F5A0280
	s_mov_b64 exec, s[88:89]                                   // 000000004AD4: BEFE0158
	buffer_load_dword v173, v2, s[12:15], 0 idxen              // 000000004AD8: E0502000 8003AD02
	s_mov_b64 exec, s[86:87]                                   // 000000004AE0: BEFE0156
	v_mov_b32_e32 v174, 0                                      // 000000004AE4: 7F5C0280
	s_mov_b64 exec, s[88:89]                                   // 000000004AE8: BEFE0158
	buffer_load_dword v174, v3, s[12:15], 0 idxen              // 000000004AEC: E0502000 8003AE03
	s_mov_b64 exec, s[86:87]                                   // 000000004AF4: BEFE0156
	v_mov_b32_e32 v175, 0                                      // 000000004AF8: 7F5E0280
	s_mov_b64 exec, s[88:89]                                   // 000000004AFC: BEFE0158
	buffer_load_dword v175, v4, s[12:15], 0 idxen              // 000000004B00: E0502000 8003AF04
	s_mov_b64 exec, s[86:87]                                   // 000000004B08: BEFE0156
	s_mul_i32 s60, 4, s6                                       // 000000004B0C: 923C0684
	s_cmp_lt_i32 1, s73                                        // 000000004B10: BF044981
	s_cselect_b32 s60, s60, 0                                  // 000000004B14: 853C803C
	v_add_u32_e32 v1, s60, v1                                  // 000000004B18: 6802023C
	v_add_u32_e32 v2, s60, v2                                  // 000000004B1C: 6804043C
	v_add_u32_e32 v3, s60, v3                                  // 000000004B20: 6806063C
	v_add_u32_e32 v4, s60, v4                                  // 000000004B24: 6808083C
	v_mov_b32_e32 v176, 0                                      // 000000004B28: 7F600280
	s_mov_b64 exec, s[88:89]                                   // 000000004B2C: BEFE0158
	buffer_load_dword v176, v1, s[12:15], 0 idxen              // 000000004B30: E0502000 8003B001
	s_mov_b64 exec, s[86:87]                                   // 000000004B38: BEFE0156
	v_mov_b32_e32 v177, 0                                      // 000000004B3C: 7F620280
	s_mov_b64 exec, s[88:89]                                   // 000000004B40: BEFE0158
	buffer_load_dword v177, v2, s[12:15], 0 idxen              // 000000004B44: E0502000 8003B102
	s_mov_b64 exec, s[86:87]                                   // 000000004B4C: BEFE0156
	v_mov_b32_e32 v178, 0                                      // 000000004B50: 7F640280
	s_mov_b64 exec, s[88:89]                                   // 000000004B54: BEFE0158
	buffer_load_dword v178, v3, s[12:15], 0 idxen              // 000000004B58: E0502000 8003B203
	s_mov_b64 exec, s[86:87]                                   // 000000004B60: BEFE0156
	v_mov_b32_e32 v179, 0                                      // 000000004B64: 7F660280
	s_mov_b64 exec, s[88:89]                                   // 000000004B68: BEFE0158
	buffer_load_dword v179, v4, s[12:15], 0 idxen              // 000000004B6C: E0502000 8003B304
	s_mov_b64 exec, s[86:87]                                   // 000000004B74: BEFE0156
	s_mul_i32 s60, 4, s6                                       // 000000004B78: 923C0684
	s_cmp_lt_i32 1, s73                                        // 000000004B7C: BF044981
	s_cselect_b32 s60, s60, 0                                  // 000000004B80: 853C803C
	v_add_u32_e32 v1, s60, v1                                  // 000000004B84: 6802023C
	v_add_u32_e32 v2, s60, v2                                  // 000000004B88: 6804043C
	v_add_u32_e32 v3, s60, v3                                  // 000000004B8C: 6806063C
	v_add_u32_e32 v4, s60, v4                                  // 000000004B90: 6808083C
	v_mov_b32_e32 v180, 0                                      // 000000004B94: 7F680280
	s_mov_b64 exec, s[88:89]                                   // 000000004B98: BEFE0158
	buffer_load_dword v180, v1, s[12:15], 0 idxen              // 000000004B9C: E0502000 8003B401
	s_mov_b64 exec, s[86:87]                                   // 000000004BA4: BEFE0156
	v_mov_b32_e32 v181, 0                                      // 000000004BA8: 7F6A0280
	s_mov_b64 exec, s[88:89]                                   // 000000004BAC: BEFE0158
	buffer_load_dword v181, v2, s[12:15], 0 idxen              // 000000004BB0: E0502000 8003B502
	s_mov_b64 exec, s[86:87]                                   // 000000004BB8: BEFE0156
	v_mov_b32_e32 v182, 0                                      // 000000004BBC: 7F6C0280
	s_mov_b64 exec, s[88:89]                                   // 000000004BC0: BEFE0158
	buffer_load_dword v182, v3, s[12:15], 0 idxen              // 000000004BC4: E0502000 8003B603
	s_mov_b64 exec, s[86:87]                                   // 000000004BCC: BEFE0156
	v_mov_b32_e32 v183, 0                                      // 000000004BD0: 7F6E0280
	s_mov_b64 exec, s[88:89]                                   // 000000004BD4: BEFE0158
	buffer_load_dword v183, v4, s[12:15], 0 idxen              // 000000004BD8: E0502000 8003B704
	s_mov_b64 exec, s[86:87]                                   // 000000004BE0: BEFE0156
	s_mul_i32 s60, 4, s6                                       // 000000004BE4: 923C0684
	s_cmp_lt_i32 2, s73                                        // 000000004BE8: BF044982
	s_cselect_b32 s60, s60, 0                                  // 000000004BEC: 853C803C
	v_add_u32_e32 v1, s60, v1                                  // 000000004BF0: 6802023C
	v_add_u32_e32 v2, s60, v2                                  // 000000004BF4: 6804043C
	v_add_u32_e32 v3, s60, v3                                  // 000000004BF8: 6806063C
	v_add_u32_e32 v4, s60, v4                                  // 000000004BFC: 6808083C
	v_mov_b32_e32 v184, 0                                      // 000000004C00: 7F700280
	s_mov_b64 exec, s[88:89]                                   // 000000004C04: BEFE0158
	buffer_load_dword v184, v1, s[12:15], 0 idxen              // 000000004C08: E0502000 8003B801
	s_mov_b64 exec, s[86:87]                                   // 000000004C10: BEFE0156
	v_mov_b32_e32 v185, 0                                      // 000000004C14: 7F720280
	s_mov_b64 exec, s[88:89]                                   // 000000004C18: BEFE0158
	buffer_load_dword v185, v2, s[12:15], 0 idxen              // 000000004C1C: E0502000 8003B902
	s_mov_b64 exec, s[86:87]                                   // 000000004C24: BEFE0156
	v_mov_b32_e32 v186, 0                                      // 000000004C28: 7F740280
	s_mov_b64 exec, s[88:89]                                   // 000000004C2C: BEFE0158
	buffer_load_dword v186, v3, s[12:15], 0 idxen              // 000000004C30: E0502000 8003BA03
	s_mov_b64 exec, s[86:87]                                   // 000000004C38: BEFE0156
	v_mov_b32_e32 v187, 0                                      // 000000004C3C: 7F760280
	s_mov_b64 exec, s[88:89]                                   // 000000004C40: BEFE0158
	buffer_load_dword v187, v4, s[12:15], 0 idxen              // 000000004C44: E0502000 8003BB04
	s_mov_b64 exec, s[86:87]                                   // 000000004C4C: BEFE0156
	s_mul_i32 s60, 4, s6                                       // 000000004C50: 923C0684
	s_cmp_lt_i32 2, s73                                        // 000000004C54: BF044982
	s_cselect_b32 s60, s60, 0                                  // 000000004C58: 853C803C
	v_add_u32_e32 v1, s60, v1                                  // 000000004C5C: 6802023C
	v_add_u32_e32 v2, s60, v2                                  // 000000004C60: 6804043C
	v_add_u32_e32 v3, s60, v3                                  // 000000004C64: 6806063C
	v_add_u32_e32 v4, s60, v4                                  // 000000004C68: 6808083C
	v_mov_b32_e32 v188, 0                                      // 000000004C6C: 7F780280
	s_mov_b64 exec, s[88:89]                                   // 000000004C70: BEFE0158
	buffer_load_dword v188, v1, s[12:15], 0 idxen              // 000000004C74: E0502000 8003BC01
	s_mov_b64 exec, s[86:87]                                   // 000000004C7C: BEFE0156
	v_mov_b32_e32 v189, 0                                      // 000000004C80: 7F7A0280
	s_mov_b64 exec, s[88:89]                                   // 000000004C84: BEFE0158
	buffer_load_dword v189, v2, s[12:15], 0 idxen              // 000000004C88: E0502000 8003BD02
	s_mov_b64 exec, s[86:87]                                   // 000000004C90: BEFE0156
	v_mov_b32_e32 v190, 0                                      // 000000004C94: 7F7C0280
	s_mov_b64 exec, s[88:89]                                   // 000000004C98: BEFE0158
	buffer_load_dword v190, v3, s[12:15], 0 idxen              // 000000004C9C: E0502000 8003BE03
	s_mov_b64 exec, s[86:87]                                   // 000000004CA4: BEFE0156
	v_mov_b32_e32 v191, 0                                      // 000000004CA8: 7F7E0280
	s_mov_b64 exec, s[88:89]                                   // 000000004CAC: BEFE0158
	buffer_load_dword v191, v4, s[12:15], 0 idxen              // 000000004CB0: E0502000 8003BF04
	s_mov_b64 exec, s[86:87]                                   // 000000004CB8: BEFE0156
	s_mul_i32 s60, 4, s6                                       // 000000004CBC: 923C0684
	s_cmp_lt_i32 2, s73                                        // 000000004CC0: BF044982
	s_cselect_b32 s60, s60, 0                                  // 000000004CC4: 853C803C
	v_add_u32_e32 v1, s60, v1                                  // 000000004CC8: 6802023C
	v_add_u32_e32 v2, s60, v2                                  // 000000004CCC: 6804043C
	v_add_u32_e32 v3, s60, v3                                  // 000000004CD0: 6806063C
	v_add_u32_e32 v4, s60, v4                                  // 000000004CD4: 6808083C
	v_mov_b32_e32 v192, 0                                      // 000000004CD8: 7F800280
	s_mov_b64 exec, s[88:89]                                   // 000000004CDC: BEFE0158
	buffer_load_dword v192, v1, s[12:15], 0 idxen              // 000000004CE0: E0502000 8003C001
	s_mov_b64 exec, s[86:87]                                   // 000000004CE8: BEFE0156
	v_mov_b32_e32 v193, 0                                      // 000000004CEC: 7F820280
	s_mov_b64 exec, s[88:89]                                   // 000000004CF0: BEFE0158
	buffer_load_dword v193, v2, s[12:15], 0 idxen              // 000000004CF4: E0502000 8003C102
	s_mov_b64 exec, s[86:87]                                   // 000000004CFC: BEFE0156
	v_mov_b32_e32 v194, 0                                      // 000000004D00: 7F840280
	s_mov_b64 exec, s[88:89]                                   // 000000004D04: BEFE0158
	buffer_load_dword v194, v3, s[12:15], 0 idxen              // 000000004D08: E0502000 8003C203
	s_mov_b64 exec, s[86:87]                                   // 000000004D10: BEFE0156
	v_mov_b32_e32 v195, 0                                      // 000000004D14: 7F860280
	s_mov_b64 exec, s[88:89]                                   // 000000004D18: BEFE0158
	buffer_load_dword v195, v4, s[12:15], 0 idxen              // 000000004D1C: E0502000 8003C304
	s_mov_b64 exec, s[86:87]                                   // 000000004D24: BEFE0156
	s_mul_i32 s60, 4, s6                                       // 000000004D28: 923C0684
	s_cmp_lt_i32 2, s73                                        // 000000004D2C: BF044982
	s_cselect_b32 s60, s60, 0                                  // 000000004D30: 853C803C
	v_add_u32_e32 v1, s60, v1                                  // 000000004D34: 6802023C
	v_add_u32_e32 v2, s60, v2                                  // 000000004D38: 6804043C
	v_add_u32_e32 v3, s60, v3                                  // 000000004D3C: 6806063C
	v_add_u32_e32 v4, s60, v4                                  // 000000004D40: 6808083C
	v_mov_b32_e32 v196, 0                                      // 000000004D44: 7F880280
	s_mov_b64 exec, s[88:89]                                   // 000000004D48: BEFE0158
	buffer_load_dword v196, v1, s[12:15], 0 idxen              // 000000004D4C: E0502000 8003C401
	s_mov_b64 exec, s[86:87]                                   // 000000004D54: BEFE0156
	v_mov_b32_e32 v197, 0                                      // 000000004D58: 7F8A0280
	s_mov_b64 exec, s[88:89]                                   // 000000004D5C: BEFE0158
	buffer_load_dword v197, v2, s[12:15], 0 idxen              // 000000004D60: E0502000 8003C502
	s_mov_b64 exec, s[86:87]                                   // 000000004D68: BEFE0156
	v_mov_b32_e32 v198, 0                                      // 000000004D6C: 7F8C0280
	s_mov_b64 exec, s[88:89]                                   // 000000004D70: BEFE0158
	buffer_load_dword v198, v3, s[12:15], 0 idxen              // 000000004D74: E0502000 8003C603
	s_mov_b64 exec, s[86:87]                                   // 000000004D7C: BEFE0156
	v_mov_b32_e32 v199, 0                                      // 000000004D80: 7F8E0280
	s_mov_b64 exec, s[88:89]                                   // 000000004D84: BEFE0158
	buffer_load_dword v199, v4, s[12:15], 0 idxen              // 000000004D88: E0502000 8003C704
	s_mov_b64 exec, s[86:87]                                   // 000000004D90: BEFE0156
	s_mul_i32 s60, 4, s6                                       // 000000004D94: 923C0684
	s_cmp_lt_i32 3, s73                                        // 000000004D98: BF044983
	s_cselect_b32 s60, s60, 0                                  // 000000004D9C: 853C803C
	v_add_u32_e32 v1, s60, v1                                  // 000000004DA0: 6802023C
	v_add_u32_e32 v2, s60, v2                                  // 000000004DA4: 6804043C
	v_add_u32_e32 v3, s60, v3                                  // 000000004DA8: 6806063C
	v_add_u32_e32 v4, s60, v4                                  // 000000004DAC: 6808083C
	s_waitcnt vmcnt(32) lgkmcnt(0)                             // 000000004DB0: BF8C8070
	s_barrier                                                  // 000000004DB4: BF8A0000
	s_cmp_lt_i32 0, s73                                        // 000000004DB8: BF044980
	s_cbranch_scc1 label_0400                                  // 000000004DBC: BF850010
	v_mov_b32_e32 v152, 0                                      // 000000004DC0: 7F300280
	v_mov_b32_e32 v153, 0                                      // 000000004DC4: 7F320280
	v_mov_b32_e32 v154, 0                                      // 000000004DC8: 7F340280
	v_mov_b32_e32 v155, 0                                      // 000000004DCC: 7F360280
	v_mov_b32_e32 v156, 0                                      // 000000004DD0: 7F380280
	v_mov_b32_e32 v157, 0                                      // 000000004DD4: 7F3A0280
	v_mov_b32_e32 v158, 0                                      // 000000004DD8: 7F3C0280
	v_mov_b32_e32 v159, 0                                      // 000000004DDC: 7F3E0280
	v_mov_b32_e32 v160, 0                                      // 000000004DE0: 7F400280
	v_mov_b32_e32 v161, 0                                      // 000000004DE4: 7F420280
	v_mov_b32_e32 v162, 0                                      // 000000004DE8: 7F440280
	v_mov_b32_e32 v163, 0                                      // 000000004DEC: 7F460280
	v_mov_b32_e32 v164, 0                                      // 000000004DF0: 7F480280
	v_mov_b32_e32 v165, 0                                      // 000000004DF4: 7F4A0280
	v_mov_b32_e32 v166, 0                                      // 000000004DF8: 7F4C0280
	v_mov_b32_e32 v167, 0                                      // 000000004DFC: 7F4E0280

0000000000004e00 <label_0400>:
	v_perm_b32 v200, v153, v152, s63                           // 000000004E00: D1ED00C8 00FF3199
	v_perm_b32 v201, v153, v152, s64                           // 000000004E08: D1ED00C9 01033199
	v_perm_b32 v202, v155, v154, s63                           // 000000004E10: D1ED00CA 00FF359B
	v_perm_b32 v203, v155, v154, s64                           // 000000004E18: D1ED00CB 0103359B
	v_perm_b32 v204, v157, v156, s63                           // 000000004E20: D1ED00CC 00FF399D
	v_perm_b32 v205, v157, v156, s64                           // 000000004E28: D1ED00CD 0103399D
	v_perm_b32 v206, v159, v158, s63                           // 000000004E30: D1ED00CE 00FF3D9F
	v_perm_b32 v207, v159, v158, s64                           // 000000004E38: D1ED00CF 01033D9F
	v_perm_b32 v208, v161, v160, s63                           // 000000004E40: D1ED00D0 00FF41A1
	v_perm_b32 v209, v161, v160, s64                           // 000000004E48: D1ED00D1 010341A1
	v_perm_b32 v210, v163, v162, s63                           // 000000004E50: D1ED00D2 00FF45A3
	v_perm_b32 v211, v163, v162, s64                           // 000000004E58: D1ED00D3 010345A3
	v_perm_b32 v212, v165, v164, s63                           // 000000004E60: D1ED00D4 00FF49A5
	v_perm_b32 v213, v165, v164, s64                           // 000000004E68: D1ED00D5 010349A5
	v_perm_b32 v214, v167, v166, s63                           // 000000004E70: D1ED00D6 00FF4DA7
	v_perm_b32 v215, v167, v166, s64                           // 000000004E78: D1ED00D7 01034DA7
	ds_write_b32 v13, v200 offset:17408                        // 000000004E80: D81A4400 0000C80D
	ds_write_b32 v13, v201 offset:18464                        // 000000004E88: D81A4820 0000C90D
	ds_write_b32 v13, v202 offset:17536                        // 000000004E90: D81A4480 0000CA0D
	ds_write_b32 v13, v203 offset:18592                        // 000000004E98: D81A48A0 0000CB0D
	ds_write_b32 v13, v204 offset:21760                        // 000000004EA0: D81A5500 0000CC0D
	ds_write_b32 v13, v205 offset:22816                        // 000000004EA8: D81A5920 0000CD0D
	ds_write_b32 v13, v206 offset:21888                        // 000000004EB0: D81A5580 0000CE0D
	ds_write_b32 v13, v207 offset:22944                        // 000000004EB8: D81A59A0 0000CF0D
	ds_write_b32 v13, v208 offset:26112                        // 000000004EC0: D81A6600 0000D00D
	ds_write_b32 v13, v209 offset:27168                        // 000000004EC8: D81A6A20 0000D10D
	ds_write_b32 v13, v210 offset:26240                        // 000000004ED0: D81A6680 0000D20D
	ds_write_b32 v13, v211 offset:27296                        // 000000004ED8: D81A6AA0 0000D30D
	ds_write_b32 v13, v212 offset:30464                        // 000000004EE0: D81A7700 0000D40D
	ds_write_b32 v13, v213 offset:31520                        // 000000004EE8: D81A7B20 0000D50D
	ds_write_b32 v13, v214 offset:30592                        // 000000004EF0: D81A7780 0000D60D
	ds_write_b32 v13, v215 offset:31648                        // 000000004EF8: D81A7BA0 0000D70D
	ds_write_b32 v11, v152                                     // 000000004F00: D81A0000 0000980B
	ds_write_b32 v11, v153 offset:1056                         // 000000004F08: D81A0420 0000990B
	ds_write_b32 v11, v154 offset:128                          // 000000004F10: D81A0080 00009A0B
	ds_write_b32 v11, v155 offset:1184                         // 000000004F18: D81A04A0 00009B0B
	ds_write_b32 v11, v156 offset:4352                         // 000000004F20: D81A1100 00009C0B
	ds_write_b32 v11, v157 offset:5408                         // 000000004F28: D81A1520 00009D0B
	ds_write_b32 v11, v158 offset:4480                         // 000000004F30: D81A1180 00009E0B
	ds_write_b32 v11, v159 offset:5536                         // 000000004F38: D81A15A0 00009F0B
	ds_write_b32 v11, v160 offset:8704                         // 000000004F40: D81A2200 0000A00B
	ds_write_b32 v11, v161 offset:9760                         // 000000004F48: D81A2620 0000A10B
	ds_write_b32 v11, v162 offset:8832                         // 000000004F50: D81A2280 0000A20B
	ds_write_b32 v11, v163 offset:9888                         // 000000004F58: D81A26A0 0000A30B
	ds_write_b32 v11, v164 offset:13056                        // 000000004F60: D81A3300 0000A40B
	ds_write_b32 v11, v165 offset:14112                        // 000000004F68: D81A3720 0000A50B
	ds_write_b32 v11, v166 offset:13184                        // 000000004F70: D81A3380 0000A60B
	ds_write_b32 v11, v167 offset:14240                        // 000000004F78: D81A37A0 0000A70B
	v_mov_b32_e32 v152, 0                                      // 000000004F80: 7F300280
	s_mov_b64 exec, s[88:89]                                   // 000000004F84: BEFE0158
	buffer_load_dword v152, v252, s[16:19], 0 idxen            // 000000004F88: E0502000 800498FC
	s_mov_b64 exec, s[86:87]                                   // 000000004F90: BEFE0156
	v_mov_b32_e32 v153, 0                                      // 000000004F94: 7F320280
	s_mov_b64 exec, s[88:89]                                   // 000000004F98: BEFE0158
	buffer_load_dword v153, v253, s[16:19], 0 idxen            // 000000004F9C: E0502000 800499FD
	s_mov_b64 exec, s[86:87]                                   // 000000004FA4: BEFE0156
	v_mov_b32_e32 v154, 0                                      // 000000004FA8: 7F340280
	s_mov_b64 exec, s[88:89]                                   // 000000004FAC: BEFE0158
	buffer_load_dword v154, v254, s[16:19], 0 idxen            // 000000004FB0: E0502000 80049AFE
	s_mov_b64 exec, s[86:87]                                   // 000000004FB8: BEFE0156
	v_mov_b32_e32 v155, 0                                      // 000000004FBC: 7F360280
	s_mov_b64 exec, s[88:89]                                   // 000000004FC0: BEFE0158
	buffer_load_dword v155, v255, s[16:19], 0 idxen            // 000000004FC4: E0502000 80049BFF
	s_mov_b64 exec, s[86:87]                                   // 000000004FCC: BEFE0156
	s_mul_i32 s60, 4, s7                                       // 000000004FD0: 923C0784
	s_cmp_lt_i32 0, s73                                        // 000000004FD4: BF044980
	s_cselect_b32 s60, s60, 0                                  // 000000004FD8: 853C803C
	v_add_u32_e32 v252, s60, v252                              // 000000004FDC: 69F9F83C
	v_add_u32_e32 v253, s60, v253                              // 000000004FE0: 69FBFA3C
	v_add_u32_e32 v254, s60, v254                              // 000000004FE4: 69FDFC3C
	v_add_u32_e32 v255, s60, v255                              // 000000004FE8: 69FFFE3C
	v_mov_b32_e32 v156, 0                                      // 000000004FEC: 7F380280
	s_mov_b64 exec, s[88:89]                                   // 000000004FF0: BEFE0158
	buffer_load_dword v156, v252, s[16:19], 0 idxen            // 000000004FF4: E0502000 80049CFC
	s_mov_b64 exec, s[86:87]                                   // 000000004FFC: BEFE0156
	v_mov_b32_e32 v157, 0                                      // 000000005000: 7F3A0280
	s_mov_b64 exec, s[88:89]                                   // 000000005004: BEFE0158
	buffer_load_dword v157, v253, s[16:19], 0 idxen            // 000000005008: E0502000 80049DFD
	s_mov_b64 exec, s[86:87]                                   // 000000005010: BEFE0156
	v_mov_b32_e32 v158, 0                                      // 000000005014: 7F3C0280
	s_mov_b64 exec, s[88:89]                                   // 000000005018: BEFE0158
	buffer_load_dword v158, v254, s[16:19], 0 idxen            // 00000000501C: E0502000 80049EFE
	s_mov_b64 exec, s[86:87]                                   // 000000005024: BEFE0156
	v_mov_b32_e32 v159, 0                                      // 000000005028: 7F3E0280
	s_mov_b64 exec, s[88:89]                                   // 00000000502C: BEFE0158
	buffer_load_dword v159, v255, s[16:19], 0 idxen            // 000000005030: E0502000 80049FFF
	s_mov_b64 exec, s[86:87]                                   // 000000005038: BEFE0156
	s_mul_i32 s60, 4, s7                                       // 00000000503C: 923C0784
	s_cmp_lt_i32 0, s73                                        // 000000005040: BF044980
	s_cselect_b32 s60, s60, 0                                  // 000000005044: 853C803C
	v_add_u32_e32 v252, s60, v252                              // 000000005048: 69F9F83C
	v_add_u32_e32 v253, s60, v253                              // 00000000504C: 69FBFA3C
	v_add_u32_e32 v254, s60, v254                              // 000000005050: 69FDFC3C
	v_add_u32_e32 v255, s60, v255                              // 000000005054: 69FFFE3C
	v_mov_b32_e32 v160, 0                                      // 000000005058: 7F400280
	s_mov_b64 exec, s[88:89]                                   // 00000000505C: BEFE0158
	buffer_load_dword v160, v252, s[16:19], 0 idxen            // 000000005060: E0502000 8004A0FC
	s_mov_b64 exec, s[86:87]                                   // 000000005068: BEFE0156
	v_mov_b32_e32 v161, 0                                      // 00000000506C: 7F420280
	s_mov_b64 exec, s[88:89]                                   // 000000005070: BEFE0158
	buffer_load_dword v161, v253, s[16:19], 0 idxen            // 000000005074: E0502000 8004A1FD
	s_mov_b64 exec, s[86:87]                                   // 00000000507C: BEFE0156
	v_mov_b32_e32 v162, 0                                      // 000000005080: 7F440280
	s_mov_b64 exec, s[88:89]                                   // 000000005084: BEFE0158
	buffer_load_dword v162, v254, s[16:19], 0 idxen            // 000000005088: E0502000 8004A2FE
	s_mov_b64 exec, s[86:87]                                   // 000000005090: BEFE0156
	v_mov_b32_e32 v163, 0                                      // 000000005094: 7F460280
	s_mov_b64 exec, s[88:89]                                   // 000000005098: BEFE0158
	buffer_load_dword v163, v255, s[16:19], 0 idxen            // 00000000509C: E0502000 8004A3FF
	s_mov_b64 exec, s[86:87]                                   // 0000000050A4: BEFE0156
	s_mul_i32 s60, 4, s7                                       // 0000000050A8: 923C0784
	s_cmp_lt_i32 0, s73                                        // 0000000050AC: BF044980
	s_cselect_b32 s60, s60, 0                                  // 0000000050B0: 853C803C
	v_add_u32_e32 v252, s60, v252                              // 0000000050B4: 69F9F83C
	v_add_u32_e32 v253, s60, v253                              // 0000000050B8: 69FBFA3C
	v_add_u32_e32 v254, s60, v254                              // 0000000050BC: 69FDFC3C
	v_add_u32_e32 v255, s60, v255                              // 0000000050C0: 69FFFE3C
	v_mov_b32_e32 v164, 0                                      // 0000000050C4: 7F480280
	s_mov_b64 exec, s[88:89]                                   // 0000000050C8: BEFE0158
	buffer_load_dword v164, v252, s[16:19], 0 idxen            // 0000000050CC: E0502000 8004A4FC
	s_mov_b64 exec, s[86:87]                                   // 0000000050D4: BEFE0156
	v_mov_b32_e32 v165, 0                                      // 0000000050D8: 7F4A0280
	s_mov_b64 exec, s[88:89]                                   // 0000000050DC: BEFE0158
	buffer_load_dword v165, v253, s[16:19], 0 idxen            // 0000000050E0: E0502000 8004A5FD
	s_mov_b64 exec, s[86:87]                                   // 0000000050E8: BEFE0156
	v_mov_b32_e32 v166, 0                                      // 0000000050EC: 7F4C0280
	s_mov_b64 exec, s[88:89]                                   // 0000000050F0: BEFE0158
	buffer_load_dword v166, v254, s[16:19], 0 idxen            // 0000000050F4: E0502000 8004A6FE
	s_mov_b64 exec, s[86:87]                                   // 0000000050FC: BEFE0156
	v_mov_b32_e32 v167, 0                                      // 000000005100: 7F4E0280
	s_mov_b64 exec, s[88:89]                                   // 000000005104: BEFE0158
	buffer_load_dword v167, v255, s[16:19], 0 idxen            // 000000005108: E0502000 8004A7FF
	s_mov_b64 exec, s[86:87]                                   // 000000005110: BEFE0156
	s_mul_i32 s60, 4, s7                                       // 000000005114: 923C0784
	s_cmp_lt_i32 1, s73                                        // 000000005118: BF044981
	s_cselect_b32 s60, s60, 0                                  // 00000000511C: 853C803C
	v_add_u32_e32 v252, s60, v252                              // 000000005120: 69F9F83C
	v_add_u32_e32 v253, s60, v253                              // 000000005124: 69FBFA3C
	v_add_u32_e32 v254, s60, v254                              // 000000005128: 69FDFC3C
	v_add_u32_e32 v255, s60, v255                              // 00000000512C: 69FFFE3C
	s_waitcnt lgkmcnt(0)                                       // 000000005130: BF8CC07F
	s_barrier                                                  // 000000005134: BF8A0000
	ds_read_b128 a[48:51], v23 offset:17408                    // 000000005138: DBFE4400 30000017
	ds_read_b128 a[52:55], v23 offset:17664                    // 000000005140: DBFE4500 34000017
	ds_read_b128 a[56:59], v23 offset:26112                    // 000000005148: DBFE6600 38000017
	ds_read_b128 a[60:63], v23 offset:26368                    // 000000005150: DBFE6700 3C000017
	ds_read_b128 a[0:3], v22                                   // 000000005158: DBFE0000 00000016
	ds_read_b128 a[4:7], v22 offset:512                        // 000000005160: DBFE0200 04000016
	ds_read_b128 a[8:11], v22 offset:2176                      // 000000005168: DBFE0880 08000016
	ds_read_b128 a[12:15], v22 offset:2688                     // 000000005170: DBFE0A80 0C000016
	s_waitcnt vmcnt(32) lgkmcnt(0)                             // 000000005178: BF8C8070
	s_barrier                                                  // 00000000517C: BF8A0000
	s_cmp_lt_i32 1, s73                                        // 000000005180: BF044981
	s_cbranch_scc1 label_04F2                                  // 000000005184: BF850010
	v_mov_b32_e32 v168, 0                                      // 000000005188: 7F500280
	v_mov_b32_e32 v169, 0                                      // 00000000518C: 7F520280
	v_mov_b32_e32 v170, 0                                      // 000000005190: 7F540280
	v_mov_b32_e32 v171, 0                                      // 000000005194: 7F560280
	v_mov_b32_e32 v172, 0                                      // 000000005198: 7F580280
	v_mov_b32_e32 v173, 0                                      // 00000000519C: 7F5A0280
	v_mov_b32_e32 v174, 0                                      // 0000000051A0: 7F5C0280
	v_mov_b32_e32 v175, 0                                      // 0000000051A4: 7F5E0280
	v_mov_b32_e32 v176, 0                                      // 0000000051A8: 7F600280
	v_mov_b32_e32 v177, 0                                      // 0000000051AC: 7F620280
	v_mov_b32_e32 v178, 0                                      // 0000000051B0: 7F640280
	v_mov_b32_e32 v179, 0                                      // 0000000051B4: 7F660280
	v_mov_b32_e32 v180, 0                                      // 0000000051B8: 7F680280
	v_mov_b32_e32 v181, 0                                      // 0000000051BC: 7F6A0280
	v_mov_b32_e32 v182, 0                                      // 0000000051C0: 7F6C0280
	v_mov_b32_e32 v183, 0                                      // 0000000051C4: 7F6E0280

00000000000051c8 <label_04F2>:
	v_perm_b32 v200, v169, v168, s63                           // 0000000051C8: D1ED00C8 00FF51A9
	v_perm_b32 v201, v169, v168, s64                           // 0000000051D0: D1ED00C9 010351A9
	v_perm_b32 v202, v171, v170, s63                           // 0000000051D8: D1ED00CA 00FF55AB
	v_perm_b32 v203, v171, v170, s64                           // 0000000051E0: D1ED00CB 010355AB
	v_perm_b32 v204, v173, v172, s63                           // 0000000051E8: D1ED00CC 00FF59AD
	v_perm_b32 v205, v173, v172, s64                           // 0000000051F0: D1ED00CD 010359AD
	v_perm_b32 v206, v175, v174, s63                           // 0000000051F8: D1ED00CE 00FF5DAF
	v_perm_b32 v207, v175, v174, s64                           // 000000005200: D1ED00CF 01035DAF
	v_perm_b32 v208, v177, v176, s63                           // 000000005208: D1ED00D0 00FF61B1
	v_perm_b32 v209, v177, v176, s64                           // 000000005210: D1ED00D1 010361B1
	v_perm_b32 v210, v179, v178, s63                           // 000000005218: D1ED00D2 00FF65B3
	v_perm_b32 v211, v179, v178, s64                           // 000000005220: D1ED00D3 010365B3
	v_perm_b32 v212, v181, v180, s63                           // 000000005228: D1ED00D4 00FF69B5
	v_perm_b32 v213, v181, v180, s64                           // 000000005230: D1ED00D5 010369B5
	v_perm_b32 v214, v183, v182, s63                           // 000000005238: D1ED00D6 00FF6DB7
	v_perm_b32 v215, v183, v182, s64                           // 000000005240: D1ED00D7 01036DB7
	ds_write_b32 v13, v200 offset:17408                        // 000000005248: D81A4400 0000C80D
	ds_write_b32 v13, v201 offset:18464                        // 000000005250: D81A4820 0000C90D
	ds_write_b32 v13, v202 offset:17536                        // 000000005258: D81A4480 0000CA0D
	ds_write_b32 v13, v203 offset:18592                        // 000000005260: D81A48A0 0000CB0D
	ds_write_b32 v13, v204 offset:21760                        // 000000005268: D81A5500 0000CC0D
	ds_write_b32 v13, v205 offset:22816                        // 000000005270: D81A5920 0000CD0D
	ds_write_b32 v13, v206 offset:21888                        // 000000005278: D81A5580 0000CE0D
	ds_write_b32 v13, v207 offset:22944                        // 000000005280: D81A59A0 0000CF0D
	ds_write_b32 v13, v208 offset:26112                        // 000000005288: D81A6600 0000D00D
	ds_write_b32 v13, v209 offset:27168                        // 000000005290: D81A6A20 0000D10D
	ds_write_b32 v13, v210 offset:26240                        // 000000005298: D81A6680 0000D20D
	ds_write_b32 v13, v211 offset:27296                        // 0000000052A0: D81A6AA0 0000D30D
	ds_write_b32 v13, v212 offset:30464                        // 0000000052A8: D81A7700 0000D40D
	ds_write_b32 v13, v213 offset:31520                        // 0000000052B0: D81A7B20 0000D50D
	ds_write_b32 v13, v214 offset:30592                        // 0000000052B8: D81A7780 0000D60D
	ds_write_b32 v13, v215 offset:31648                        // 0000000052C0: D81A7BA0 0000D70D
	ds_write_b32 v11, v168                                     // 0000000052C8: D81A0000 0000A80B
	ds_write_b32 v11, v169 offset:1056                         // 0000000052D0: D81A0420 0000A90B
	ds_write_b32 v11, v170 offset:128                          // 0000000052D8: D81A0080 0000AA0B
	ds_write_b32 v11, v171 offset:1184                         // 0000000052E0: D81A04A0 0000AB0B
	ds_write_b32 v11, v172 offset:4352                         // 0000000052E8: D81A1100 0000AC0B
	ds_write_b32 v11, v173 offset:5408                         // 0000000052F0: D81A1520 0000AD0B
	ds_write_b32 v11, v174 offset:4480                         // 0000000052F8: D81A1180 0000AE0B
	ds_write_b32 v11, v175 offset:5536                         // 000000005300: D81A15A0 0000AF0B
	ds_write_b32 v11, v176 offset:8704                         // 000000005308: D81A2200 0000B00B
	ds_write_b32 v11, v177 offset:9760                         // 000000005310: D81A2620 0000B10B
	ds_write_b32 v11, v178 offset:8832                         // 000000005318: D81A2280 0000B20B
	ds_write_b32 v11, v179 offset:9888                         // 000000005320: D81A26A0 0000B30B
	ds_write_b32 v11, v180 offset:13056                        // 000000005328: D81A3300 0000B40B
	ds_write_b32 v11, v181 offset:14112                        // 000000005330: D81A3720 0000B50B
	ds_write_b32 v11, v182 offset:13184                        // 000000005338: D81A3380 0000B60B
	ds_write_b32 v11, v183 offset:14240                        // 000000005340: D81A37A0 0000B70B
	v_mov_b32_e32 v168, 0                                      // 000000005348: 7F500280
	s_mov_b64 exec, s[88:89]                                   // 00000000534C: BEFE0158
	buffer_load_dword v168, v252, s[16:19], 0 idxen            // 000000005350: E0502000 8004A8FC
	s_mov_b64 exec, s[86:87]                                   // 000000005358: BEFE0156
	v_mov_b32_e32 v169, 0                                      // 00000000535C: 7F520280
	s_mov_b64 exec, s[88:89]                                   // 000000005360: BEFE0158
	buffer_load_dword v169, v253, s[16:19], 0 idxen            // 000000005364: E0502000 8004A9FD
	s_mov_b64 exec, s[86:87]                                   // 00000000536C: BEFE0156
	v_mov_b32_e32 v170, 0                                      // 000000005370: 7F540280
	s_mov_b64 exec, s[88:89]                                   // 000000005374: BEFE0158
	buffer_load_dword v170, v254, s[16:19], 0 idxen            // 000000005378: E0502000 8004AAFE
	s_mov_b64 exec, s[86:87]                                   // 000000005380: BEFE0156
	v_mov_b32_e32 v171, 0                                      // 000000005384: 7F560280
	s_mov_b64 exec, s[88:89]                                   // 000000005388: BEFE0158
	buffer_load_dword v171, v255, s[16:19], 0 idxen            // 00000000538C: E0502000 8004ABFF
	s_mov_b64 exec, s[86:87]                                   // 000000005394: BEFE0156
	s_mul_i32 s60, 4, s7                                       // 000000005398: 923C0784
	s_cmp_lt_i32 1, s73                                        // 00000000539C: BF044981
	s_cselect_b32 s60, s60, 0                                  // 0000000053A0: 853C803C
	v_add_u32_e32 v252, s60, v252                              // 0000000053A4: 69F9F83C
	v_add_u32_e32 v253, s60, v253                              // 0000000053A8: 69FBFA3C
	v_add_u32_e32 v254, s60, v254                              // 0000000053AC: 69FDFC3C
	v_add_u32_e32 v255, s60, v255                              // 0000000053B0: 69FFFE3C
	v_mov_b32_e32 v172, 0                                      // 0000000053B4: 7F580280
	s_mov_b64 exec, s[88:89]                                   // 0000000053B8: BEFE0158
	buffer_load_dword v172, v252, s[16:19], 0 idxen            // 0000000053BC: E0502000 8004ACFC
	s_mov_b64 exec, s[86:87]                                   // 0000000053C4: BEFE0156
	v_mov_b32_e32 v173, 0                                      // 0000000053C8: 7F5A0280
	s_mov_b64 exec, s[88:89]                                   // 0000000053CC: BEFE0158
	buffer_load_dword v173, v253, s[16:19], 0 idxen            // 0000000053D0: E0502000 8004ADFD
	s_mov_b64 exec, s[86:87]                                   // 0000000053D8: BEFE0156
	v_mov_b32_e32 v174, 0                                      // 0000000053DC: 7F5C0280
	s_mov_b64 exec, s[88:89]                                   // 0000000053E0: BEFE0158
	buffer_load_dword v174, v254, s[16:19], 0 idxen            // 0000000053E4: E0502000 8004AEFE
	s_mov_b64 exec, s[86:87]                                   // 0000000053EC: BEFE0156
	v_mov_b32_e32 v175, 0                                      // 0000000053F0: 7F5E0280
	s_mov_b64 exec, s[88:89]                                   // 0000000053F4: BEFE0158
	buffer_load_dword v175, v255, s[16:19], 0 idxen            // 0000000053F8: E0502000 8004AFFF
	s_mov_b64 exec, s[86:87]                                   // 000000005400: BEFE0156
	s_mul_i32 s60, 4, s7                                       // 000000005404: 923C0784
	s_cmp_lt_i32 1, s73                                        // 000000005408: BF044981
	s_cselect_b32 s60, s60, 0                                  // 00000000540C: 853C803C
	v_add_u32_e32 v252, s60, v252                              // 000000005410: 69F9F83C
	v_add_u32_e32 v253, s60, v253                              // 000000005414: 69FBFA3C
	v_add_u32_e32 v254, s60, v254                              // 000000005418: 69FDFC3C
	v_add_u32_e32 v255, s60, v255                              // 00000000541C: 69FFFE3C
	v_mov_b32_e32 v176, 0                                      // 000000005420: 7F600280
	s_mov_b64 exec, s[88:89]                                   // 000000005424: BEFE0158
	buffer_load_dword v176, v252, s[16:19], 0 idxen            // 000000005428: E0502000 8004B0FC
	s_mov_b64 exec, s[86:87]                                   // 000000005430: BEFE0156
	v_mov_b32_e32 v177, 0                                      // 000000005434: 7F620280
	s_mov_b64 exec, s[88:89]                                   // 000000005438: BEFE0158
	buffer_load_dword v177, v253, s[16:19], 0 idxen            // 00000000543C: E0502000 8004B1FD
	s_mov_b64 exec, s[86:87]                                   // 000000005444: BEFE0156
	v_mov_b32_e32 v178, 0                                      // 000000005448: 7F640280
	s_mov_b64 exec, s[88:89]                                   // 00000000544C: BEFE0158
	buffer_load_dword v178, v254, s[16:19], 0 idxen            // 000000005450: E0502000 8004B2FE
	s_mov_b64 exec, s[86:87]                                   // 000000005458: BEFE0156
	v_mov_b32_e32 v179, 0                                      // 00000000545C: 7F660280
	s_mov_b64 exec, s[88:89]                                   // 000000005460: BEFE0158
	buffer_load_dword v179, v255, s[16:19], 0 idxen            // 000000005464: E0502000 8004B3FF
	s_mov_b64 exec, s[86:87]                                   // 00000000546C: BEFE0156
	s_mul_i32 s60, 4, s7                                       // 000000005470: 923C0784
	s_cmp_lt_i32 1, s73                                        // 000000005474: BF044981
	s_cselect_b32 s60, s60, 0                                  // 000000005478: 853C803C
	v_add_u32_e32 v252, s60, v252                              // 00000000547C: 69F9F83C
	v_add_u32_e32 v253, s60, v253                              // 000000005480: 69FBFA3C
	v_add_u32_e32 v254, s60, v254                              // 000000005484: 69FDFC3C
	v_add_u32_e32 v255, s60, v255                              // 000000005488: 69FFFE3C
	v_mov_b32_e32 v180, 0                                      // 00000000548C: 7F680280
	s_mov_b64 exec, s[88:89]                                   // 000000005490: BEFE0158
	buffer_load_dword v180, v252, s[16:19], 0 idxen            // 000000005494: E0502000 8004B4FC
	s_mov_b64 exec, s[86:87]                                   // 00000000549C: BEFE0156
	v_mov_b32_e32 v181, 0                                      // 0000000054A0: 7F6A0280
	s_mov_b64 exec, s[88:89]                                   // 0000000054A4: BEFE0158
	buffer_load_dword v181, v253, s[16:19], 0 idxen            // 0000000054A8: E0502000 8004B5FD
	s_mov_b64 exec, s[86:87]                                   // 0000000054B0: BEFE0156
	v_mov_b32_e32 v182, 0                                      // 0000000054B4: 7F6C0280
	s_mov_b64 exec, s[88:89]                                   // 0000000054B8: BEFE0158
	buffer_load_dword v182, v254, s[16:19], 0 idxen            // 0000000054BC: E0502000 8004B6FE
	s_mov_b64 exec, s[86:87]                                   // 0000000054C4: BEFE0156
	v_mov_b32_e32 v183, 0                                      // 0000000054C8: 7F6E0280
	s_mov_b64 exec, s[88:89]                                   // 0000000054CC: BEFE0158
	buffer_load_dword v183, v255, s[16:19], 0 idxen            // 0000000054D0: E0502000 8004B7FF
	s_mov_b64 exec, s[86:87]                                   // 0000000054D8: BEFE0156
	s_mul_i32 s60, 4, s7                                       // 0000000054DC: 923C0784
	s_cmp_lt_i32 2, s73                                        // 0000000054E0: BF044982
	s_cselect_b32 s60, s60, 0                                  // 0000000054E4: 853C803C
	v_add_u32_e32 v252, s60, v252                              // 0000000054E8: 69F9F83C
	v_add_u32_e32 v253, s60, v253                              // 0000000054EC: 69FBFA3C
	v_add_u32_e32 v254, s60, v254                              // 0000000054F0: 69FDFC3C
	v_add_u32_e32 v255, s60, v255                              // 0000000054F4: 69FFFE3C
	s_waitcnt lgkmcnt(0)                                       // 0000000054F8: BF8CC07F
	s_barrier                                                  // 0000000054FC: BF8A0000
	ds_read_b128 a[64:67], v23 offset:17408                    // 000000005500: DBFE4400 40000017
	ds_read_b128 a[68:71], v23 offset:17664                    // 000000005508: DBFE4500 44000017
	ds_read_b128 a[72:75], v23 offset:26112                    // 000000005510: DBFE6600 48000017
	ds_read_b128 a[76:79], v23 offset:26368                    // 000000005518: DBFE6700 4C000017
	ds_read_b128 a[16:19], v22                                 // 000000005520: DBFE0000 10000016
	ds_read_b128 a[20:23], v22 offset:512                      // 000000005528: DBFE0200 14000016
	ds_read_b128 a[24:27], v22 offset:2176                     // 000000005530: DBFE0880 18000016
	ds_read_b128 a[28:31], v22 offset:2688                     // 000000005538: DBFE0A80 1C000016
	s_waitcnt vmcnt(32) lgkmcnt(0)                             // 000000005540: BF8C8070
	s_barrier                                                  // 000000005544: BF8A0000
	s_cmp_lt_i32 2, s73                                        // 000000005548: BF044982
	s_cbranch_scc1 label_05E4                                  // 00000000554C: BF850010
	v_mov_b32_e32 v184, 0                                      // 000000005550: 7F700280
	v_mov_b32_e32 v185, 0                                      // 000000005554: 7F720280
	v_mov_b32_e32 v186, 0                                      // 000000005558: 7F740280
	v_mov_b32_e32 v187, 0                                      // 00000000555C: 7F760280
	v_mov_b32_e32 v188, 0                                      // 000000005560: 7F780280
	v_mov_b32_e32 v189, 0                                      // 000000005564: 7F7A0280
	v_mov_b32_e32 v190, 0                                      // 000000005568: 7F7C0280
	v_mov_b32_e32 v191, 0                                      // 00000000556C: 7F7E0280
	v_mov_b32_e32 v192, 0                                      // 000000005570: 7F800280
	v_mov_b32_e32 v193, 0                                      // 000000005574: 7F820280
	v_mov_b32_e32 v194, 0                                      // 000000005578: 7F840280
	v_mov_b32_e32 v195, 0                                      // 00000000557C: 7F860280
	v_mov_b32_e32 v196, 0                                      // 000000005580: 7F880280
	v_mov_b32_e32 v197, 0                                      // 000000005584: 7F8A0280
	v_mov_b32_e32 v198, 0                                      // 000000005588: 7F8C0280
	v_mov_b32_e32 v199, 0                                      // 00000000558C: 7F8E0280

0000000000005590 <label_05E4>:
	v_perm_b32 v200, v185, v184, s63                           // 000000005590: D1ED00C8 00FF71B9
	v_perm_b32 v201, v185, v184, s64                           // 000000005598: D1ED00C9 010371B9
	v_perm_b32 v202, v187, v186, s63                           // 0000000055A0: D1ED00CA 00FF75BB
	v_perm_b32 v203, v187, v186, s64                           // 0000000055A8: D1ED00CB 010375BB
	v_perm_b32 v204, v189, v188, s63                           // 0000000055B0: D1ED00CC 00FF79BD
	v_perm_b32 v205, v189, v188, s64                           // 0000000055B8: D1ED00CD 010379BD
	v_perm_b32 v206, v191, v190, s63                           // 0000000055C0: D1ED00CE 00FF7DBF
	v_perm_b32 v207, v191, v190, s64                           // 0000000055C8: D1ED00CF 01037DBF
	v_perm_b32 v208, v193, v192, s63                           // 0000000055D0: D1ED00D0 00FF81C1
	v_perm_b32 v209, v193, v192, s64                           // 0000000055D8: D1ED00D1 010381C1
	v_perm_b32 v210, v195, v194, s63                           // 0000000055E0: D1ED00D2 00FF85C3
	v_perm_b32 v211, v195, v194, s64                           // 0000000055E8: D1ED00D3 010385C3
	v_perm_b32 v212, v197, v196, s63                           // 0000000055F0: D1ED00D4 00FF89C5
	v_perm_b32 v213, v197, v196, s64                           // 0000000055F8: D1ED00D5 010389C5
	v_perm_b32 v214, v199, v198, s63                           // 000000005600: D1ED00D6 00FF8DC7
	v_perm_b32 v215, v199, v198, s64                           // 000000005608: D1ED00D7 01038DC7
	ds_write_b32 v13, v200 offset:17408                        // 000000005610: D81A4400 0000C80D
	ds_write_b32 v13, v201 offset:18464                        // 000000005618: D81A4820 0000C90D
	ds_write_b32 v13, v202 offset:17536                        // 000000005620: D81A4480 0000CA0D
	ds_write_b32 v13, v203 offset:18592                        // 000000005628: D81A48A0 0000CB0D
	ds_write_b32 v13, v204 offset:21760                        // 000000005630: D81A5500 0000CC0D
	ds_write_b32 v13, v205 offset:22816                        // 000000005638: D81A5920 0000CD0D
	ds_write_b32 v13, v206 offset:21888                        // 000000005640: D81A5580 0000CE0D
	ds_write_b32 v13, v207 offset:22944                        // 000000005648: D81A59A0 0000CF0D
	ds_write_b32 v13, v208 offset:26112                        // 000000005650: D81A6600 0000D00D
	ds_write_b32 v13, v209 offset:27168                        // 000000005658: D81A6A20 0000D10D
	ds_write_b32 v13, v210 offset:26240                        // 000000005660: D81A6680 0000D20D
	ds_write_b32 v13, v211 offset:27296                        // 000000005668: D81A6AA0 0000D30D
	ds_write_b32 v13, v212 offset:30464                        // 000000005670: D81A7700 0000D40D
	ds_write_b32 v13, v213 offset:31520                        // 000000005678: D81A7B20 0000D50D
	ds_write_b32 v13, v214 offset:30592                        // 000000005680: D81A7780 0000D60D
	ds_write_b32 v13, v215 offset:31648                        // 000000005688: D81A7BA0 0000D70D
	ds_write_b32 v11, v184                                     // 000000005690: D81A0000 0000B80B
	ds_write_b32 v11, v185 offset:1056                         // 000000005698: D81A0420 0000B90B
	ds_write_b32 v11, v186 offset:128                          // 0000000056A0: D81A0080 0000BA0B
	ds_write_b32 v11, v187 offset:1184                         // 0000000056A8: D81A04A0 0000BB0B
	ds_write_b32 v11, v188 offset:4352                         // 0000000056B0: D81A1100 0000BC0B
	ds_write_b32 v11, v189 offset:5408                         // 0000000056B8: D81A1520 0000BD0B
	ds_write_b32 v11, v190 offset:4480                         // 0000000056C0: D81A1180 0000BE0B
	ds_write_b32 v11, v191 offset:5536                         // 0000000056C8: D81A15A0 0000BF0B
	ds_write_b32 v11, v192 offset:8704                         // 0000000056D0: D81A2200 0000C00B
	ds_write_b32 v11, v193 offset:9760                         // 0000000056D8: D81A2620 0000C10B
	ds_write_b32 v11, v194 offset:8832                         // 0000000056E0: D81A2280 0000C20B
	ds_write_b32 v11, v195 offset:9888                         // 0000000056E8: D81A26A0 0000C30B
	ds_write_b32 v11, v196 offset:13056                        // 0000000056F0: D81A3300 0000C40B
	ds_write_b32 v11, v197 offset:14112                        // 0000000056F8: D81A3720 0000C50B
	ds_write_b32 v11, v198 offset:13184                        // 000000005700: D81A3380 0000C60B
	ds_write_b32 v11, v199 offset:14240                        // 000000005708: D81A37A0 0000C70B
	v_mov_b32_e32 v184, 0                                      // 000000005710: 7F700280
	s_mov_b64 exec, s[88:89]                                   // 000000005714: BEFE0158
	buffer_load_dword v184, v252, s[16:19], 0 idxen            // 000000005718: E0502000 8004B8FC
	s_mov_b64 exec, s[86:87]                                   // 000000005720: BEFE0156
	v_mov_b32_e32 v185, 0                                      // 000000005724: 7F720280
	s_mov_b64 exec, s[88:89]                                   // 000000005728: BEFE0158
	buffer_load_dword v185, v253, s[16:19], 0 idxen            // 00000000572C: E0502000 8004B9FD
	s_mov_b64 exec, s[86:87]                                   // 000000005734: BEFE0156
	v_mov_b32_e32 v186, 0                                      // 000000005738: 7F740280
	s_mov_b64 exec, s[88:89]                                   // 00000000573C: BEFE0158
	buffer_load_dword v186, v254, s[16:19], 0 idxen            // 000000005740: E0502000 8004BAFE
	s_mov_b64 exec, s[86:87]                                   // 000000005748: BEFE0156
	v_mov_b32_e32 v187, 0                                      // 00000000574C: 7F760280
	s_mov_b64 exec, s[88:89]                                   // 000000005750: BEFE0158
	buffer_load_dword v187, v255, s[16:19], 0 idxen            // 000000005754: E0502000 8004BBFF
	s_mov_b64 exec, s[86:87]                                   // 00000000575C: BEFE0156
	s_mul_i32 s60, 4, s7                                       // 000000005760: 923C0784
	s_cmp_lt_i32 2, s73                                        // 000000005764: BF044982
	s_cselect_b32 s60, s60, 0                                  // 000000005768: 853C803C
	v_add_u32_e32 v252, s60, v252                              // 00000000576C: 69F9F83C
	v_add_u32_e32 v253, s60, v253                              // 000000005770: 69FBFA3C
	v_add_u32_e32 v254, s60, v254                              // 000000005774: 69FDFC3C
	v_add_u32_e32 v255, s60, v255                              // 000000005778: 69FFFE3C
	v_mov_b32_e32 v188, 0                                      // 00000000577C: 7F780280
	s_mov_b64 exec, s[88:89]                                   // 000000005780: BEFE0158
	buffer_load_dword v188, v252, s[16:19], 0 idxen            // 000000005784: E0502000 8004BCFC
	s_mov_b64 exec, s[86:87]                                   // 00000000578C: BEFE0156
	v_mov_b32_e32 v189, 0                                      // 000000005790: 7F7A0280
	s_mov_b64 exec, s[88:89]                                   // 000000005794: BEFE0158
	buffer_load_dword v189, v253, s[16:19], 0 idxen            // 000000005798: E0502000 8004BDFD
	s_mov_b64 exec, s[86:87]                                   // 0000000057A0: BEFE0156
	v_mov_b32_e32 v190, 0                                      // 0000000057A4: 7F7C0280
	s_mov_b64 exec, s[88:89]                                   // 0000000057A8: BEFE0158
	buffer_load_dword v190, v254, s[16:19], 0 idxen            // 0000000057AC: E0502000 8004BEFE
	s_mov_b64 exec, s[86:87]                                   // 0000000057B4: BEFE0156
	v_mov_b32_e32 v191, 0                                      // 0000000057B8: 7F7E0280
	s_mov_b64 exec, s[88:89]                                   // 0000000057BC: BEFE0158
	buffer_load_dword v191, v255, s[16:19], 0 idxen            // 0000000057C0: E0502000 8004BFFF
	s_mov_b64 exec, s[86:87]                                   // 0000000057C8: BEFE0156
	s_mul_i32 s60, 4, s7                                       // 0000000057CC: 923C0784
	s_cmp_lt_i32 2, s73                                        // 0000000057D0: BF044982
	s_cselect_b32 s60, s60, 0                                  // 0000000057D4: 853C803C
	v_add_u32_e32 v252, s60, v252                              // 0000000057D8: 69F9F83C
	v_add_u32_e32 v253, s60, v253                              // 0000000057DC: 69FBFA3C
	v_add_u32_e32 v254, s60, v254                              // 0000000057E0: 69FDFC3C
	v_add_u32_e32 v255, s60, v255                              // 0000000057E4: 69FFFE3C
	v_mov_b32_e32 v192, 0                                      // 0000000057E8: 7F800280
	s_mov_b64 exec, s[88:89]                                   // 0000000057EC: BEFE0158
	buffer_load_dword v192, v252, s[16:19], 0 idxen            // 0000000057F0: E0502000 8004C0FC
	s_mov_b64 exec, s[86:87]                                   // 0000000057F8: BEFE0156
	v_mov_b32_e32 v193, 0                                      // 0000000057FC: 7F820280
	s_mov_b64 exec, s[88:89]                                   // 000000005800: BEFE0158
	buffer_load_dword v193, v253, s[16:19], 0 idxen            // 000000005804: E0502000 8004C1FD
	s_mov_b64 exec, s[86:87]                                   // 00000000580C: BEFE0156
	v_mov_b32_e32 v194, 0                                      // 000000005810: 7F840280
	s_mov_b64 exec, s[88:89]                                   // 000000005814: BEFE0158
	buffer_load_dword v194, v254, s[16:19], 0 idxen            // 000000005818: E0502000 8004C2FE
	s_mov_b64 exec, s[86:87]                                   // 000000005820: BEFE0156
	v_mov_b32_e32 v195, 0                                      // 000000005824: 7F860280
	s_mov_b64 exec, s[88:89]                                   // 000000005828: BEFE0158
	buffer_load_dword v195, v255, s[16:19], 0 idxen            // 00000000582C: E0502000 8004C3FF
	s_mov_b64 exec, s[86:87]                                   // 000000005834: BEFE0156
	s_mul_i32 s60, 4, s7                                       // 000000005838: 923C0784
	s_cmp_lt_i32 2, s73                                        // 00000000583C: BF044982
	s_cselect_b32 s60, s60, 0                                  // 000000005840: 853C803C
	v_add_u32_e32 v252, s60, v252                              // 000000005844: 69F9F83C
	v_add_u32_e32 v253, s60, v253                              // 000000005848: 69FBFA3C
	v_add_u32_e32 v254, s60, v254                              // 00000000584C: 69FDFC3C
	v_add_u32_e32 v255, s60, v255                              // 000000005850: 69FFFE3C
	v_mov_b32_e32 v196, 0                                      // 000000005854: 7F880280
	s_mov_b64 exec, s[88:89]                                   // 000000005858: BEFE0158
	buffer_load_dword v196, v252, s[16:19], 0 idxen            // 00000000585C: E0502000 8004C4FC
	s_mov_b64 exec, s[86:87]                                   // 000000005864: BEFE0156
	v_mov_b32_e32 v197, 0                                      // 000000005868: 7F8A0280
	s_mov_b64 exec, s[88:89]                                   // 00000000586C: BEFE0158
	buffer_load_dword v197, v253, s[16:19], 0 idxen            // 000000005870: E0502000 8004C5FD
	s_mov_b64 exec, s[86:87]                                   // 000000005878: BEFE0156
	v_mov_b32_e32 v198, 0                                      // 00000000587C: 7F8C0280
	s_mov_b64 exec, s[88:89]                                   // 000000005880: BEFE0158
	buffer_load_dword v198, v254, s[16:19], 0 idxen            // 000000005884: E0502000 8004C6FE
	s_mov_b64 exec, s[86:87]                                   // 00000000588C: BEFE0156
	v_mov_b32_e32 v199, 0                                      // 000000005890: 7F8E0280
	s_mov_b64 exec, s[88:89]                                   // 000000005894: BEFE0158
	buffer_load_dword v199, v255, s[16:19], 0 idxen            // 000000005898: E0502000 8004C7FF
	s_mov_b64 exec, s[86:87]                                   // 0000000058A0: BEFE0156
	s_mul_i32 s60, 4, s7                                       // 0000000058A4: 923C0784
	s_cmp_lt_i32 3, s73                                        // 0000000058A8: BF044983
	s_cselect_b32 s60, s60, 0                                  // 0000000058AC: 853C803C
	v_add_u32_e32 v252, s60, v252                              // 0000000058B0: 69F9F83C
	v_add_u32_e32 v253, s60, v253                              // 0000000058B4: 69FBFA3C
	v_add_u32_e32 v254, s60, v254                              // 0000000058B8: 69FDFC3C
	v_add_u32_e32 v255, s60, v255                              // 0000000058BC: 69FFFE3C
	s_waitcnt lgkmcnt(0)                                       // 0000000058C0: BF8CC07F
	s_barrier                                                  // 0000000058C4: BF8A0000
	ds_read_b128 a[80:83], v23 offset:17408                    // 0000000058C8: DBFE4400 50000017
	ds_read_b128 a[84:87], v23 offset:17664                    // 0000000058D0: DBFE4500 54000017
	ds_read_b128 a[88:91], v23 offset:26112                    // 0000000058D8: DBFE6600 58000017
	ds_read_b128 a[92:95], v23 offset:26368                    // 0000000058E0: DBFE6700 5C000017
	ds_read_b128 a[32:35], v22                                 // 0000000058E8: DBFE0000 20000016
	ds_read_b128 a[36:39], v22 offset:512                      // 0000000058F0: DBFE0200 24000016
	ds_read_b128 a[40:43], v22 offset:2176                     // 0000000058F8: DBFE0880 28000016
	ds_read_b128 a[44:47], v22 offset:2688                     // 000000005900: DBFE0A80 2C000016
	s_waitcnt vmcnt(32) lgkmcnt(0)                             // 000000005908: BF8C8070
	s_barrier                                                  // 00000000590C: BF8A0000
	s_cmp_lt_i32 0, s73                                        // 000000005910: BF044980
	s_cbranch_scc1 label_06D6                                  // 000000005914: BF850010
	v_mov_b32_e32 v152, 0                                      // 000000005918: 7F300280
	v_mov_b32_e32 v153, 0                                      // 00000000591C: 7F320280
	v_mov_b32_e32 v154, 0                                      // 000000005920: 7F340280
	v_mov_b32_e32 v155, 0                                      // 000000005924: 7F360280
	v_mov_b32_e32 v156, 0                                      // 000000005928: 7F380280
	v_mov_b32_e32 v157, 0                                      // 00000000592C: 7F3A0280
	v_mov_b32_e32 v158, 0                                      // 000000005930: 7F3C0280
	v_mov_b32_e32 v159, 0                                      // 000000005934: 7F3E0280
	v_mov_b32_e32 v160, 0                                      // 000000005938: 7F400280
	v_mov_b32_e32 v161, 0                                      // 00000000593C: 7F420280
	v_mov_b32_e32 v162, 0                                      // 000000005940: 7F440280
	v_mov_b32_e32 v163, 0                                      // 000000005944: 7F460280
	v_mov_b32_e32 v164, 0                                      // 000000005948: 7F480280
	v_mov_b32_e32 v165, 0                                      // 00000000594C: 7F4A0280
	v_mov_b32_e32 v166, 0                                      // 000000005950: 7F4C0280
	v_mov_b32_e32 v167, 0                                      // 000000005954: 7F4E0280

0000000000005958 <label_06D6>:
	ds_write_b32 v11, v152                                     // 000000005958: D81A0000 0000980B
	ds_write_b32 v11, v153 offset:1056                         // 000000005960: D81A0420 0000990B
	ds_write_b32 v11, v154 offset:128                          // 000000005968: D81A0080 00009A0B
	ds_write_b32 v11, v155 offset:1184                         // 000000005970: D81A04A0 00009B0B
	ds_write_b32 v11, v156 offset:4352                         // 000000005978: D81A1100 00009C0B
	ds_write_b32 v11, v157 offset:5408                         // 000000005980: D81A1520 00009D0B
	ds_write_b32 v11, v158 offset:4480                         // 000000005988: D81A1180 00009E0B
	ds_write_b32 v11, v159 offset:5536                         // 000000005990: D81A15A0 00009F0B
	ds_write_b32 v11, v160 offset:8704                         // 000000005998: D81A2200 0000A00B
	ds_write_b32 v11, v161 offset:9760                         // 0000000059A0: D81A2620 0000A10B
	ds_write_b32 v11, v162 offset:8832                         // 0000000059A8: D81A2280 0000A20B
	ds_write_b32 v11, v163 offset:9888                         // 0000000059B0: D81A26A0 0000A30B
	ds_write_b32 v11, v164 offset:13056                        // 0000000059B8: D81A3300 0000A40B
	ds_write_b32 v11, v165 offset:14112                        // 0000000059C0: D81A3720 0000A50B
	ds_write_b32 v11, v166 offset:13184                        // 0000000059C8: D81A3380 0000A60B
	ds_write_b32 v11, v167 offset:14240                        // 0000000059D0: D81A37A0 0000A70B
	s_mov_b32 s71, s5                                          // 0000000059D8: BEC70005
	v_lshrrev_b32_e32 v28, 4, v0                               // 0000000059DC: 20380084
	v_and_b32_e32 v29, 1, v28                                  // 0000000059E0: 263A3881
	v_lshlrev_b32_e32 v29, 1, v29                              // 0000000059E4: 243A3A81
	v_mul_i32_i24_e32 v29, s71, v29                            // 0000000059E8: 0C3A3A47
	v_and_b32_e32 v30, 2, v28                                  // 0000000059EC: 263C3882
	v_lshlrev_b32_e32 v30, 5, v30                              // 0000000059F0: 243C3C85
	v_add_u32_e32 v29, v30, v29                                // 0000000059F4: 683A3B1E
	v_and_b32_e32 v28, 15, v0                                  // 0000000059F8: 2638008F
	v_lshlrev_b32_e32 v28, 2, v28                              // 0000000059FC: 24383882
	v_add_u32_e32 v1, v28, v29                                 // 000000005A00: 68023B1C
	s_and_b32 s60, 1, s46                                      // 000000005A04: 863C2E81
	s_mul_i32 s60, s60, s71                                    // 000000005A08: 923C473C
	s_mul_i32 s60, s60, 8                                      // 000000005A0C: 923C883C
	s_lshr_b32 s61, s46, 1                                     // 000000005A10: 8F3D812E
	s_mul_i32 s61, s61, 0x80                                   // 000000005A14: 923DFF3D 00000080
	s_add_u32 s60, s60, s61                                    // 000000005A1C: 803C3D3C
	v_add_u32_e32 v1, s60, v1                                  // 000000005A20: 6802023C
	v_add_u32_e32 v2, s71, v1                                  // 000000005A24: 68040247
	s_mul_i32 s60, 4, s71                                      // 000000005A28: 923C4784
	v_add_u32_e32 v3, s60, v1                                  // 000000005A2C: 6806023C
	v_add_u32_e32 v4, s60, v2                                  // 000000005A30: 6808043C
	s_mov_b32 s71, s51                                         // 000000005A34: BEC70033
	v_lshrrev_b32_e32 v28, 4, v0                               // 000000005A38: 20380084
	v_and_b32_e32 v29, 1, v28                                  // 000000005A3C: 263A3881
	v_lshlrev_b32_e32 v29, 1, v29                              // 000000005A40: 243A3A81
	v_mul_i32_i24_e32 v29, s71, v29                            // 000000005A44: 0C3A3A47
	v_and_b32_e32 v30, 2, v28                                  // 000000005A48: 263C3882
	v_lshlrev_b32_e32 v30, 5, v30                              // 000000005A4C: 243C3C85
	v_add_u32_e32 v29, v30, v29                                // 000000005A50: 683A3B1E
	v_and_b32_e32 v28, 15, v0                                  // 000000005A54: 2638008F
	v_lshlrev_b32_e32 v28, 2, v28                              // 000000005A58: 24383882
	v_add_u32_e32 v252, v28, v29                               // 000000005A5C: 69F83B1C
	s_and_b32 s60, 1, s46                                      // 000000005A60: 863C2E81
	s_mul_i32 s60, s60, s71                                    // 000000005A64: 923C473C
	s_mul_i32 s60, s60, 8                                      // 000000005A68: 923C883C
	s_lshr_b32 s61, s46, 1                                     // 000000005A6C: 8F3D812E
	s_mul_i32 s61, s61, 0x80                                   // 000000005A70: 923DFF3D 00000080
	s_add_u32 s60, s60, s61                                    // 000000005A78: 803C3D3C
	v_add_u32_e32 v252, s60, v252                              // 000000005A7C: 69F9F83C
	v_add_u32_e32 v253, s71, v252                              // 000000005A80: 69FBF847
	s_mul_i32 s60, 4, s71                                      // 000000005A84: 923C4784
	v_add_u32_e32 v254, s60, v252                              // 000000005A88: 69FDF83C
	v_add_u32_e32 v255, s60, v253                              // 000000005A8C: 69FFFA3C
	v_lshrrev_b32_e32 v1, 2, v1                                // 000000005A90: 20020282
	v_lshrrev_b32_e32 v2, 2, v2                                // 000000005A94: 20040482
	v_lshrrev_b32_e32 v3, 2, v3                                // 000000005A98: 20060682
	v_lshrrev_b32_e32 v4, 2, v4                                // 000000005A9C: 20080882
	v_lshrrev_b32_e32 v252, 2, v252                            // 000000005AA0: 21F9F882
	v_lshrrev_b32_e32 v253, 2, v253                            // 000000005AA4: 21FBFA82
	v_lshrrev_b32_e32 v254, 2, v254                            // 000000005AA8: 21FDFC82
	v_lshrrev_b32_e32 v255, 2, v255                            // 000000005AAC: 21FFFE82
	v_mov_b32_e32 v32, 0                                       // 000000005AB0: 7E400280
	s_mov_b64 exec, s[88:89]                                   // 000000005AB4: BEFE0158
	buffer_load_dword v32, v1, s[8:11], 0 idxen                // 000000005AB8: E0502000 80022001
	s_mov_b64 exec, s[86:87]                                   // 000000005AC0: BEFE0156
	v_mov_b32_e32 v33, 0                                       // 000000005AC4: 7E420280
	s_mov_b64 exec, s[88:89]                                   // 000000005AC8: BEFE0158
	buffer_load_dword v33, v2, s[8:11], 0 idxen                // 000000005ACC: E0502000 80022102
	s_mov_b64 exec, s[86:87]                                   // 000000005AD4: BEFE0156
	v_mov_b32_e32 v34, 0                                       // 000000005AD8: 7E440280
	s_mov_b64 exec, s[88:89]                                   // 000000005ADC: BEFE0158
	buffer_load_dword v34, v3, s[8:11], 0 idxen                // 000000005AE0: E0502000 80022203
	s_mov_b64 exec, s[86:87]                                   // 000000005AE8: BEFE0156
	v_mov_b32_e32 v35, 0                                       // 000000005AEC: 7E460280
	s_mov_b64 exec, s[88:89]                                   // 000000005AF0: BEFE0158
	buffer_load_dword v35, v4, s[8:11], 0 idxen                // 000000005AF4: E0502000 80022304
	s_mov_b64 exec, s[86:87]                                   // 000000005AFC: BEFE0156
	v_mov_b32_e32 v40, 0                                       // 000000005B00: 7E500280
	s_mov_b64 exec, s[88:89]                                   // 000000005B04: BEFE0158
	buffer_load_dword v40, v252, s[20:23], 0 idxen             // 000000005B08: E0502000 800528FC
	s_mov_b64 exec, s[86:87]                                   // 000000005B10: BEFE0156
	v_mov_b32_e32 v41, 0                                       // 000000005B14: 7E520280
	s_mov_b64 exec, s[88:89]                                   // 000000005B18: BEFE0158
	buffer_load_dword v41, v253, s[20:23], 0 idxen             // 000000005B1C: E0502000 800529FD
	s_mov_b64 exec, s[86:87]                                   // 000000005B24: BEFE0156
	v_mov_b32_e32 v42, 0                                       // 000000005B28: 7E540280
	s_mov_b64 exec, s[88:89]                                   // 000000005B2C: BEFE0158
	buffer_load_dword v42, v254, s[20:23], 0 idxen             // 000000005B30: E0502000 80052AFE
	s_mov_b64 exec, s[86:87]                                   // 000000005B38: BEFE0156
	v_mov_b32_e32 v43, 0                                       // 000000005B3C: 7E560280
	s_mov_b64 exec, s[88:89]                                   // 000000005B40: BEFE0158
	buffer_load_dword v43, v255, s[20:23], 0 idxen             // 000000005B44: E0502000 80052BFF
	s_mov_b64 exec, s[86:87]                                   // 000000005B4C: BEFE0156
	s_waitcnt lgkmcnt(0)                                       // 000000005B50: BF8CC07F
	s_barrier                                                  // 000000005B54: BF8A0000
	ds_read_b128 a[96:99], v22                                 // 000000005B58: DBFE0000 60000016
	ds_read_b128 a[100:103], v22 offset:512                    // 000000005B60: DBFE0200 64000016
	ds_read_b128 a[104:107], v22 offset:2176                   // 000000005B68: DBFE0880 68000016
	ds_read_b128 a[108:111], v22 offset:2688                   // 000000005B70: DBFE0A80 6C000016
	v_add_u32_e32 v1, s68, v1                                  // 000000005B78: 68020244
	v_add_u32_e32 v2, s68, v2                                  // 000000005B7C: 68040444
	v_add_u32_e32 v3, s68, v3                                  // 000000005B80: 68060644
	v_add_u32_e32 v4, s68, v4                                  // 000000005B84: 68080844
	v_add_u32_e32 v252, s97, v252                              // 000000005B88: 69F9F861
	v_add_u32_e32 v253, s97, v253                              // 000000005B8C: 69FBFA61
	v_add_u32_e32 v254, s97, v254                              // 000000005B90: 69FDFC61
	v_add_u32_e32 v255, s97, v255                              // 000000005B94: 69FFFE61
	s_waitcnt vmcnt(24) lgkmcnt(0)                             // 000000005B98: BF8C4078
	s_barrier                                                  // 000000005B9C: BF8A0000
	s_cmp_lt_i32 1, s73                                        // 000000005BA0: BF044981
	s_cbranch_scc1 label_077A                                  // 000000005BA4: BF850010
	v_mov_b32_e32 v168, 0                                      // 000000005BA8: 7F500280
	v_mov_b32_e32 v169, 0                                      // 000000005BAC: 7F520280
	v_mov_b32_e32 v170, 0                                      // 000000005BB0: 7F540280
	v_mov_b32_e32 v171, 0                                      // 000000005BB4: 7F560280
	v_mov_b32_e32 v172, 0                                      // 000000005BB8: 7F580280
	v_mov_b32_e32 v173, 0                                      // 000000005BBC: 7F5A0280
	v_mov_b32_e32 v174, 0                                      // 000000005BC0: 7F5C0280
	v_mov_b32_e32 v175, 0                                      // 000000005BC4: 7F5E0280
	v_mov_b32_e32 v176, 0                                      // 000000005BC8: 7F600280
	v_mov_b32_e32 v177, 0                                      // 000000005BCC: 7F620280
	v_mov_b32_e32 v178, 0                                      // 000000005BD0: 7F640280
	v_mov_b32_e32 v179, 0                                      // 000000005BD4: 7F660280
	v_mov_b32_e32 v180, 0                                      // 000000005BD8: 7F680280
	v_mov_b32_e32 v181, 0                                      // 000000005BDC: 7F6A0280
	v_mov_b32_e32 v182, 0                                      // 000000005BE0: 7F6C0280
	v_mov_b32_e32 v183, 0                                      // 000000005BE4: 7F6E0280

0000000000005be8 <label_077A>:
	ds_write_b32 v11, v168                                     // 000000005BE8: D81A0000 0000A80B
	ds_write_b32 v11, v169 offset:1056                         // 000000005BF0: D81A0420 0000A90B
	ds_write_b32 v11, v170 offset:128                          // 000000005BF8: D81A0080 0000AA0B
	ds_write_b32 v11, v171 offset:1184                         // 000000005C00: D81A04A0 0000AB0B
	ds_write_b32 v11, v172 offset:4352                         // 000000005C08: D81A1100 0000AC0B
	ds_write_b32 v11, v173 offset:5408                         // 000000005C10: D81A1520 0000AD0B
	ds_write_b32 v11, v174 offset:4480                         // 000000005C18: D81A1180 0000AE0B
	ds_write_b32 v11, v175 offset:5536                         // 000000005C20: D81A15A0 0000AF0B
	ds_write_b32 v11, v176 offset:8704                         // 000000005C28: D81A2200 0000B00B
	ds_write_b32 v11, v177 offset:9760                         // 000000005C30: D81A2620 0000B10B
	ds_write_b32 v11, v178 offset:8832                         // 000000005C38: D81A2280 0000B20B
	ds_write_b32 v11, v179 offset:9888                         // 000000005C40: D81A26A0 0000B30B
	ds_write_b32 v11, v180 offset:13056                        // 000000005C48: D81A3300 0000B40B
	ds_write_b32 v11, v181 offset:14112                        // 000000005C50: D81A3720 0000B50B
	ds_write_b32 v11, v182 offset:13184                        // 000000005C58: D81A3380 0000B60B
	ds_write_b32 v11, v183 offset:14240                        // 000000005C60: D81A37A0 0000B70B
	v_mov_b32_e32 v36, 0                                       // 000000005C68: 7E480280
	s_mov_b64 exec, s[88:89]                                   // 000000005C6C: BEFE0158
	buffer_load_dword v36, v1, s[8:11], 0 idxen                // 000000005C70: E0502000 80022401
	s_mov_b64 exec, s[86:87]                                   // 000000005C78: BEFE0156
	v_mov_b32_e32 v37, 0                                       // 000000005C7C: 7E4A0280
	s_mov_b64 exec, s[88:89]                                   // 000000005C80: BEFE0158
	buffer_load_dword v37, v2, s[8:11], 0 idxen                // 000000005C84: E0502000 80022502
	s_mov_b64 exec, s[86:87]                                   // 000000005C8C: BEFE0156
	v_mov_b32_e32 v38, 0                                       // 000000005C90: 7E4C0280
	s_mov_b64 exec, s[88:89]                                   // 000000005C94: BEFE0158
	buffer_load_dword v38, v3, s[8:11], 0 idxen                // 000000005C98: E0502000 80022603
	s_mov_b64 exec, s[86:87]                                   // 000000005CA0: BEFE0156
	v_mov_b32_e32 v39, 0                                       // 000000005CA4: 7E4E0280
	s_mov_b64 exec, s[88:89]                                   // 000000005CA8: BEFE0158
	buffer_load_dword v39, v4, s[8:11], 0 idxen                // 000000005CAC: E0502000 80022704
	s_mov_b64 exec, s[86:87]                                   // 000000005CB4: BEFE0156
	v_mov_b32_e32 v44, 0                                       // 000000005CB8: 7E580280
	s_mov_b64 exec, s[88:89]                                   // 000000005CBC: BEFE0158
	buffer_load_dword v44, v252, s[20:23], 0 idxen             // 000000005CC0: E0502000 80052CFC
	s_mov_b64 exec, s[86:87]                                   // 000000005CC8: BEFE0156
	v_mov_b32_e32 v45, 0                                       // 000000005CCC: 7E5A0280
	s_mov_b64 exec, s[88:89]                                   // 000000005CD0: BEFE0158
	buffer_load_dword v45, v253, s[20:23], 0 idxen             // 000000005CD4: E0502000 80052DFD
	s_mov_b64 exec, s[86:87]                                   // 000000005CDC: BEFE0156
	v_mov_b32_e32 v46, 0                                       // 000000005CE0: 7E5C0280
	s_mov_b64 exec, s[88:89]                                   // 000000005CE4: BEFE0158
	buffer_load_dword v46, v254, s[20:23], 0 idxen             // 000000005CE8: E0502000 80052EFE
	s_mov_b64 exec, s[86:87]                                   // 000000005CF0: BEFE0156
	v_mov_b32_e32 v47, 0                                       // 000000005CF4: 7E5E0280
	s_mov_b64 exec, s[88:89]                                   // 000000005CF8: BEFE0158
	buffer_load_dword v47, v255, s[20:23], 0 idxen             // 000000005CFC: E0502000 80052FFF
	s_mov_b64 exec, s[86:87]                                   // 000000005D04: BEFE0156
	s_waitcnt lgkmcnt(0)                                       // 000000005D08: BF8CC07F
	s_barrier                                                  // 000000005D0C: BF8A0000
	ds_read_b128 a[112:115], v22                               // 000000005D10: DBFE0000 70000016
	ds_read_b128 a[116:119], v22 offset:512                    // 000000005D18: DBFE0200 74000016
	ds_read_b128 a[120:123], v22 offset:2176                   // 000000005D20: DBFE0880 78000016
	ds_read_b128 a[124:127], v22 offset:2688                   // 000000005D28: DBFE0A80 7C000016
	v_add_u32_e32 v1, s68, v1                                  // 000000005D30: 68020244
	v_add_u32_e32 v2, s68, v2                                  // 000000005D34: 68040444
	v_add_u32_e32 v3, s68, v3                                  // 000000005D38: 68060644
	v_add_u32_e32 v4, s68, v4                                  // 000000005D3C: 68080844
	v_add_u32_e32 v252, s97, v252                              // 000000005D40: 69F9F861
	v_add_u32_e32 v253, s97, v253                              // 000000005D44: 69FBFA61
	v_add_u32_e32 v254, s97, v254                              // 000000005D48: 69FDFC61
	v_add_u32_e32 v255, s97, v255                              // 000000005D4C: 69FFFE61
	s_waitcnt vmcnt(16) lgkmcnt(0)                             // 000000005D50: BF8C4070
	s_barrier                                                  // 000000005D54: BF8A0000
	s_cmp_lt_i32 2, s73                                        // 000000005D58: BF044982
	s_cbranch_scc1 label_07E8                                  // 000000005D5C: BF850010
	v_mov_b32_e32 v184, 0                                      // 000000005D60: 7F700280
	v_mov_b32_e32 v185, 0                                      // 000000005D64: 7F720280
	v_mov_b32_e32 v186, 0                                      // 000000005D68: 7F740280
	v_mov_b32_e32 v187, 0                                      // 000000005D6C: 7F760280
	v_mov_b32_e32 v188, 0                                      // 000000005D70: 7F780280
	v_mov_b32_e32 v189, 0                                      // 000000005D74: 7F7A0280
	v_mov_b32_e32 v190, 0                                      // 000000005D78: 7F7C0280
	v_mov_b32_e32 v191, 0                                      // 000000005D7C: 7F7E0280
	v_mov_b32_e32 v192, 0                                      // 000000005D80: 7F800280
	v_mov_b32_e32 v193, 0                                      // 000000005D84: 7F820280
	v_mov_b32_e32 v194, 0                                      // 000000005D88: 7F840280
	v_mov_b32_e32 v195, 0                                      // 000000005D8C: 7F860280
	v_mov_b32_e32 v196, 0                                      // 000000005D90: 7F880280
	v_mov_b32_e32 v197, 0                                      // 000000005D94: 7F8A0280
	v_mov_b32_e32 v198, 0                                      // 000000005D98: 7F8C0280
	v_mov_b32_e32 v199, 0                                      // 000000005D9C: 7F8E0280

0000000000005da0 <label_07E8>:
	ds_write_b32 v11, v184                                     // 000000005DA0: D81A0000 0000B80B
	ds_write_b32 v11, v185 offset:1056                         // 000000005DA8: D81A0420 0000B90B
	ds_write_b32 v11, v186 offset:128                          // 000000005DB0: D81A0080 0000BA0B
	ds_write_b32 v11, v187 offset:1184                         // 000000005DB8: D81A04A0 0000BB0B
	ds_write_b32 v11, v188 offset:4352                         // 000000005DC0: D81A1100 0000BC0B
	ds_write_b32 v11, v189 offset:5408                         // 000000005DC8: D81A1520 0000BD0B
	ds_write_b32 v11, v190 offset:4480                         // 000000005DD0: D81A1180 0000BE0B
	ds_write_b32 v11, v191 offset:5536                         // 000000005DD8: D81A15A0 0000BF0B
	ds_write_b32 v11, v192 offset:8704                         // 000000005DE0: D81A2200 0000C00B
	ds_write_b32 v11, v193 offset:9760                         // 000000005DE8: D81A2620 0000C10B
	ds_write_b32 v11, v194 offset:8832                         // 000000005DF0: D81A2280 0000C20B
	ds_write_b32 v11, v195 offset:9888                         // 000000005DF8: D81A26A0 0000C30B
	ds_write_b32 v11, v196 offset:13056                        // 000000005E00: D81A3300 0000C40B
	ds_write_b32 v11, v197 offset:14112                        // 000000005E08: D81A3720 0000C50B
	ds_write_b32 v11, v198 offset:13184                        // 000000005E10: D81A3380 0000C60B
	ds_write_b32 v11, v199 offset:14240                        // 000000005E18: D81A37A0 0000C70B
	s_waitcnt lgkmcnt(0)                                       // 000000005E20: BF8CC07F
	s_barrier                                                  // 000000005E24: BF8A0000
	ds_read_b128 a[128:131], v22                               // 000000005E28: DBFE0000 80000016
	ds_read_b128 a[132:135], v22 offset:512                    // 000000005E30: DBFE0200 84000016
	ds_read_b128 a[136:139], v22 offset:2176                   // 000000005E38: DBFE0880 88000016
	ds_read_b128 a[140:143], v22 offset:2688                   // 000000005E40: DBFE0A80 8C000016
	s_waitcnt vmcnt(8) lgkmcnt(0)                              // 000000005E48: BF8C0078
	s_barrier                                                  // 000000005E4C: BF8A0000
	buffer_load_dword v9, s[24:27], 0 idxen lds                // 000000005E50: E0512000 80060009
	s_mov_b32 m0, s77                                          // 000000005E58: BEFC004D
	v_add_u32_e32 v9, s69, v9                                  // 000000005E5C: 68121245
	v_perm_b32 v84, v33, v32, s63                              // 000000005E60: D1ED0054 00FE4121
	v_perm_b32 v85, v33, v32, s64                              // 000000005E68: D1ED0055 01024121
	v_perm_b32 v86, v35, v34, s63                              // 000000005E70: D1ED0056 00FE4523
	v_perm_b32 v87, v35, v34, s64                              // 000000005E78: D1ED0057 01024523
	ds_write_b32 v13, v84 offset:4352                          // 000000005E80: D81A1100 0000540D
	ds_write_b32 v13, v85 offset:5408                          // 000000005E88: D81A1520 0000550D
	ds_write_b32 v13, v86 offset:4480                          // 000000005E90: D81A1180 0000560D
	ds_write_b32 v13, v87 offset:5536                          // 000000005E98: D81A15A0 0000570D
	ds_write_b32 v11, v32                                      // 000000005EA0: D81A0000 0000200B
	ds_write_b32 v11, v33 offset:1056                          // 000000005EA8: D81A0420 0000210B
	ds_write_b32 v11, v34 offset:128                           // 000000005EB0: D81A0080 0000220B
	ds_write_b32 v11, v35 offset:1184                          // 000000005EB8: D81A04A0 0000230B
	buffer_load_dword v9, s[24:27], 0 idxen lds                // 000000005EC0: E0512000 80060009
	s_mov_b32 m0, s76                                          // 000000005EC8: BEFC004C
	v_add_u32_e32 v9, s69, v9                                  // 000000005ECC: 68121245
	v_perm_b32 v88, v41, v40, s63                              // 000000005ED0: D1ED0058 00FE5129
	v_perm_b32 v89, v41, v40, s64                              // 000000005ED8: D1ED0059 01025129
	v_perm_b32 v90, v43, v42, s63                              // 000000005EE0: D1ED005A 00FE552B
	v_perm_b32 v91, v43, v42, s64                              // 000000005EE8: D1ED005B 0102552B
	ds_write_b32 v13, v88 offset:13056                         // 000000005EF0: D81A3300 0000580D
	ds_write_b32 v13, v89 offset:14112                         // 000000005EF8: D81A3720 0000590D
	ds_write_b32 v13, v90 offset:13184                         // 000000005F00: D81A3380 00005A0D
	ds_write_b32 v13, v91 offset:14240                         // 000000005F08: D81A37A0 00005B0D
	ds_write_b32 v11, v40 offset:8704                          // 000000005F10: D81A2200 0000280B
	ds_write_b32 v11, v41 offset:9760                          // 000000005F18: D81A2620 0000290B
	ds_write_b32 v11, v42 offset:8832                          // 000000005F20: D81A2280 00002A0B
	ds_write_b32 v11, v43 offset:9888                          // 000000005F28: D81A26A0 00002B0B
	s_waitcnt vmcnt(1) lgkmcnt(0)                              // 000000005F30: BF8C0071
	s_barrier                                                  // 000000005F34: BF8A0000
	ds_read_b128 a[144:147], v10                               // 000000005F38: DBFE0000 9000000A
	ds_read_b128 a[148:151], v10 offset:512                    // 000000005F40: DBFE0200 9400000A
	ds_read_b128 a[152:155], v10 offset:2176                   // 000000005F48: DBFE0880 9800000A
	ds_read_b128 a[156:159], v10 offset:2688                   // 000000005F50: DBFE0A80 9C00000A
	ds_read_b128 v[92:95], v10 offset:8704                     // 000000005F58: D9FE2200 5C00000A
	ds_read_b128 v[96:99], v10 offset:9216                     // 000000005F60: D9FE2400 6000000A
	ds_read_b128 v[100:103], v10 offset:10880                  // 000000005F68: D9FE2A80 6400000A
	ds_read_b128 v[104:107], v10 offset:11392                  // 000000005F70: D9FE2C80 6800000A
	ds_read_b32 v124, v21 offset:50688                         // 000000005F78: D86CC600 7C000015
	ds_read_b32 v150, v21 offset:50944                         // 000000005F80: D86CC700 96000015
	v_accvgpr_write_b32 a160, 0                                // 000000005F88: D3D940A0 18000080
	v_mov_b32_e32 v152, 0                                      // 000000005F90: 7F300280
	v_accvgpr_write_b32 a161, 0                                // 000000005F94: D3D940A1 18000080
	v_mov_b32_e32 v153, 0                                      // 000000005F9C: 7F320280
	v_accvgpr_write_b32 a162, 0                                // 000000005FA0: D3D940A2 18000080
	v_mov_b32_e32 v154, 0                                      // 000000005FA8: 7F340280
	v_accvgpr_write_b32 a163, 0                                // 000000005FAC: D3D940A3 18000080
	v_mov_b32_e32 v155, 0                                      // 000000005FB4: 7F360280
	v_accvgpr_write_b32 a164, 0                                // 000000005FB8: D3D940A4 18000080
	v_mov_b32_e32 v156, 0                                      // 000000005FC0: 7F380280
	v_accvgpr_write_b32 a165, 0                                // 000000005FC4: D3D940A5 18000080
	v_mov_b32_e32 v157, 0                                      // 000000005FCC: 7F3A0280
	v_accvgpr_write_b32 a166, 0                                // 000000005FD0: D3D940A6 18000080
	v_mov_b32_e32 v158, 0                                      // 000000005FD8: 7F3C0280
	v_accvgpr_write_b32 a167, 0                                // 000000005FDC: D3D940A7 18000080
	v_mov_b32_e32 v159, 0                                      // 000000005FE4: 7F3E0280
	v_accvgpr_write_b32 a168, 0                                // 000000005FE8: D3D940A8 18000080
	v_mov_b32_e32 v160, 0                                      // 000000005FF0: 7F400280
	v_accvgpr_write_b32 a169, 0                                // 000000005FF4: D3D940A9 18000080
	v_mov_b32_e32 v161, 0                                      // 000000005FFC: 7F420280
	v_accvgpr_write_b32 a170, 0                                // 000000006000: D3D940AA 18000080
	v_mov_b32_e32 v162, 0                                      // 000000006008: 7F440280
	v_accvgpr_write_b32 a171, 0                                // 00000000600C: D3D940AB 18000080
	v_mov_b32_e32 v163, 0                                      // 000000006014: 7F460280
	v_accvgpr_write_b32 a172, 0                                // 000000006018: D3D940AC 18000080
	v_mov_b32_e32 v164, 0                                      // 000000006020: 7F480280
	v_accvgpr_write_b32 a173, 0                                // 000000006024: D3D940AD 18000080
	v_mov_b32_e32 v165, 0                                      // 00000000602C: 7F4A0280
	v_accvgpr_write_b32 a174, 0                                // 000000006030: D3D940AE 18000080
	v_mov_b32_e32 v166, 0                                      // 000000006038: 7F4C0280
	v_accvgpr_write_b32 a175, 0                                // 00000000603C: D3D940AF 18000080
	v_mov_b32_e32 v167, 0                                      // 000000006044: 7F4E0280
	v_accvgpr_write_b32 a176, 0                                // 000000006048: D3D940B0 18000080
	v_mov_b32_e32 v168, 0                                      // 000000006050: 7F500280
	v_accvgpr_write_b32 a177, 0                                // 000000006054: D3D940B1 18000080
	v_mov_b32_e32 v169, 0                                      // 00000000605C: 7F520280
	v_accvgpr_write_b32 a178, 0                                // 000000006060: D3D940B2 18000080
	v_mov_b32_e32 v170, 0                                      // 000000006068: 7F540280
	v_accvgpr_write_b32 a179, 0                                // 00000000606C: D3D940B3 18000080
	v_mov_b32_e32 v171, 0                                      // 000000006074: 7F560280
	v_accvgpr_write_b32 a180, 0                                // 000000006078: D3D940B4 18000080
	v_mov_b32_e32 v172, 0                                      // 000000006080: 7F580280
	v_accvgpr_write_b32 a181, 0                                // 000000006084: D3D940B5 18000080
	v_mov_b32_e32 v173, 0                                      // 00000000608C: 7F5A0280
	v_accvgpr_write_b32 a182, 0                                // 000000006090: D3D940B6 18000080
	v_mov_b32_e32 v174, 0                                      // 000000006098: 7F5C0280
	v_accvgpr_write_b32 a183, 0                                // 00000000609C: D3D940B7 18000080
	v_mov_b32_e32 v175, 0                                      // 0000000060A4: 7F5E0280
	v_accvgpr_write_b32 a184, 0                                // 0000000060A8: D3D940B8 18000080
	v_mov_b32_e32 v176, 0                                      // 0000000060B0: 7F600280
	v_accvgpr_write_b32 a185, 0                                // 0000000060B4: D3D940B9 18000080
	v_mov_b32_e32 v177, 0                                      // 0000000060BC: 7F620280
	v_accvgpr_write_b32 a186, 0                                // 0000000060C0: D3D940BA 18000080
	v_mov_b32_e32 v178, 0                                      // 0000000060C8: 7F640280
	v_accvgpr_write_b32 a187, 0                                // 0000000060CC: D3D940BB 18000080
	v_mov_b32_e32 v179, 0                                      // 0000000060D4: 7F660280
	v_accvgpr_write_b32 a188, 0                                // 0000000060D8: D3D940BC 18000080
	v_mov_b32_e32 v180, 0                                      // 0000000060E0: 7F680280
	v_accvgpr_write_b32 a189, 0                                // 0000000060E4: D3D940BD 18000080
	v_mov_b32_e32 v181, 0                                      // 0000000060EC: 7F6A0280
	v_accvgpr_write_b32 a190, 0                                // 0000000060F0: D3D940BE 18000080
	v_mov_b32_e32 v182, 0                                      // 0000000060F8: 7F6C0280
	v_accvgpr_write_b32 a191, 0                                // 0000000060FC: D3D940BF 18000080
	v_mov_b32_e32 v183, 0                                      // 000000006104: 7F6E0280
	v_accvgpr_write_b32 a192, 0                                // 000000006108: D3D940C0 18000080
	v_mov_b32_e32 v184, 0                                      // 000000006110: 7F700280
	v_accvgpr_write_b32 a193, 0                                // 000000006114: D3D940C1 18000080
	v_mov_b32_e32 v185, 0                                      // 00000000611C: 7F720280
	v_accvgpr_write_b32 a194, 0                                // 000000006120: D3D940C2 18000080
	v_mov_b32_e32 v186, 0                                      // 000000006128: 7F740280
	v_accvgpr_write_b32 a195, 0                                // 00000000612C: D3D940C3 18000080
	v_mov_b32_e32 v187, 0                                      // 000000006134: 7F760280
	v_accvgpr_write_b32 a196, 0                                // 000000006138: D3D940C4 18000080
	v_mov_b32_e32 v188, 0                                      // 000000006140: 7F780280
	v_accvgpr_write_b32 a197, 0                                // 000000006144: D3D940C5 18000080
	v_mov_b32_e32 v189, 0                                      // 00000000614C: 7F7A0280
	v_accvgpr_write_b32 a198, 0                                // 000000006150: D3D940C6 18000080
	v_mov_b32_e32 v190, 0                                      // 000000006158: 7F7C0280
	v_accvgpr_write_b32 a199, 0                                // 00000000615C: D3D940C7 18000080
	v_mov_b32_e32 v191, 0                                      // 000000006164: 7F7E0280
	v_accvgpr_write_b32 a200, 0                                // 000000006168: D3D940C8 18000080
	v_mov_b32_e32 v192, 0                                      // 000000006170: 7F800280
	v_accvgpr_write_b32 a201, 0                                // 000000006174: D3D940C9 18000080
	v_mov_b32_e32 v193, 0                                      // 00000000617C: 7F820280
	v_accvgpr_write_b32 a202, 0                                // 000000006180: D3D940CA 18000080
	v_mov_b32_e32 v194, 0                                      // 000000006188: 7F840280
	v_accvgpr_write_b32 a203, 0                                // 00000000618C: D3D940CB 18000080
	v_mov_b32_e32 v195, 0                                      // 000000006194: 7F860280
	v_accvgpr_write_b32 a204, 0                                // 000000006198: D3D940CC 18000080
	v_mov_b32_e32 v196, 0                                      // 0000000061A0: 7F880280
	v_accvgpr_write_b32 a205, 0                                // 0000000061A4: D3D940CD 18000080
	v_mov_b32_e32 v197, 0                                      // 0000000061AC: 7F8A0280
	v_accvgpr_write_b32 a206, 0                                // 0000000061B0: D3D940CE 18000080
	v_mov_b32_e32 v198, 0                                      // 0000000061B8: 7F8C0280
	v_accvgpr_write_b32 a207, 0                                // 0000000061BC: D3D940CF 18000080
	v_mov_b32_e32 v199, 0                                      // 0000000061C4: 7F8E0280
	v_accvgpr_write_b32 a208, 0                                // 0000000061C8: D3D940D0 18000080
	v_mov_b32_e32 v200, 0                                      // 0000000061D0: 7F900280
	v_accvgpr_write_b32 a209, 0                                // 0000000061D4: D3D940D1 18000080
	v_mov_b32_e32 v201, 0                                      // 0000000061DC: 7F920280
	v_accvgpr_write_b32 a210, 0                                // 0000000061E0: D3D940D2 18000080
	v_mov_b32_e32 v202, 0                                      // 0000000061E8: 7F940280
	v_accvgpr_write_b32 a211, 0                                // 0000000061EC: D3D940D3 18000080
	v_mov_b32_e32 v203, 0                                      // 0000000061F4: 7F960280
	v_accvgpr_write_b32 a212, 0                                // 0000000061F8: D3D940D4 18000080
	v_mov_b32_e32 v204, 0                                      // 000000006200: 7F980280
	v_accvgpr_write_b32 a213, 0                                // 000000006204: D3D940D5 18000080
	v_mov_b32_e32 v205, 0                                      // 00000000620C: 7F9A0280
	v_accvgpr_write_b32 a214, 0                                // 000000006210: D3D940D6 18000080
	v_mov_b32_e32 v206, 0                                      // 000000006218: 7F9C0280
	v_accvgpr_write_b32 a215, 0                                // 00000000621C: D3D940D7 18000080
	v_mov_b32_e32 v207, 0                                      // 000000006224: 7F9E0280
	v_accvgpr_write_b32 a216, 0                                // 000000006228: D3D940D8 18000080
	v_mov_b32_e32 v208, 0                                      // 000000006230: 7FA00280
	v_accvgpr_write_b32 a217, 0                                // 000000006234: D3D940D9 18000080
	v_mov_b32_e32 v209, 0                                      // 00000000623C: 7FA20280
	v_accvgpr_write_b32 a218, 0                                // 000000006240: D3D940DA 18000080
	v_mov_b32_e32 v210, 0                                      // 000000006248: 7FA40280
	v_accvgpr_write_b32 a219, 0                                // 00000000624C: D3D940DB 18000080
	v_mov_b32_e32 v211, 0                                      // 000000006254: 7FA60280
	v_accvgpr_write_b32 a220, 0                                // 000000006258: D3D940DC 18000080
	v_mov_b32_e32 v212, 0                                      // 000000006260: 7FA80280
	v_accvgpr_write_b32 a221, 0                                // 000000006264: D3D940DD 18000080
	v_mov_b32_e32 v213, 0                                      // 00000000626C: 7FAA0280
	v_accvgpr_write_b32 a222, 0                                // 000000006270: D3D940DE 18000080
	v_mov_b32_e32 v214, 0                                      // 000000006278: 7FAC0280
	v_accvgpr_write_b32 a223, 0                                // 00000000627C: D3D940DF 18000080
	v_mov_b32_e32 v215, 0                                      // 000000006284: 7FAE0280
	v_accvgpr_write_b32 a224, 0                                // 000000006288: D3D940E0 18000080
	v_mov_b32_e32 v216, 0                                      // 000000006290: 7FB00280
	v_accvgpr_write_b32 a225, 0                                // 000000006294: D3D940E1 18000080
	v_mov_b32_e32 v217, 0                                      // 00000000629C: 7FB20280
	v_accvgpr_write_b32 a226, 0                                // 0000000062A0: D3D940E2 18000080
	v_mov_b32_e32 v218, 0                                      // 0000000062A8: 7FB40280
	v_accvgpr_write_b32 a227, 0                                // 0000000062AC: D3D940E3 18000080
	v_mov_b32_e32 v219, 0                                      // 0000000062B4: 7FB60280
	v_accvgpr_write_b32 a228, 0                                // 0000000062B8: D3D940E4 18000080
	v_mov_b32_e32 v220, 0                                      // 0000000062C0: 7FB80280
	v_accvgpr_write_b32 a229, 0                                // 0000000062C4: D3D940E5 18000080
	v_mov_b32_e32 v221, 0                                      // 0000000062CC: 7FBA0280
	v_accvgpr_write_b32 a230, 0                                // 0000000062D0: D3D940E6 18000080
	v_mov_b32_e32 v222, 0                                      // 0000000062D8: 7FBC0280
	v_accvgpr_write_b32 a231, 0                                // 0000000062DC: D3D940E7 18000080
	v_mov_b32_e32 v223, 0                                      // 0000000062E4: 7FBE0280
	v_accvgpr_write_b32 a232, 0                                // 0000000062E8: D3D940E8 18000080
	v_mov_b32_e32 v224, 0                                      // 0000000062F0: 7FC00280
	v_accvgpr_write_b32 a233, 0                                // 0000000062F4: D3D940E9 18000080
	v_mov_b32_e32 v225, 0                                      // 0000000062FC: 7FC20280
	v_accvgpr_write_b32 a234, 0                                // 000000006300: D3D940EA 18000080
	v_mov_b32_e32 v226, 0                                      // 000000006308: 7FC40280
	v_accvgpr_write_b32 a235, 0                                // 00000000630C: D3D940EB 18000080
	v_mov_b32_e32 v227, 0                                      // 000000006314: 7FC60280
	v_accvgpr_write_b32 a236, 0                                // 000000006318: D3D940EC 18000080
	v_mov_b32_e32 v228, 0                                      // 000000006320: 7FC80280
	v_accvgpr_write_b32 a237, 0                                // 000000006324: D3D940ED 18000080
	v_mov_b32_e32 v229, 0                                      // 00000000632C: 7FCA0280
	v_accvgpr_write_b32 a238, 0                                // 000000006330: D3D940EE 18000080
	v_mov_b32_e32 v230, 0                                      // 000000006338: 7FCC0280
	v_accvgpr_write_b32 a239, 0                                // 00000000633C: D3D940EF 18000080
	v_mov_b32_e32 v231, 0                                      // 000000006344: 7FCE0280
	v_accvgpr_write_b32 a240, 0                                // 000000006348: D3D940F0 18000080
	v_mov_b32_e32 v232, 0                                      // 000000006350: 7FD00280
	v_accvgpr_write_b32 a241, 0                                // 000000006354: D3D940F1 18000080
	v_mov_b32_e32 v233, 0                                      // 00000000635C: 7FD20280
	v_accvgpr_write_b32 a242, 0                                // 000000006360: D3D940F2 18000080
	v_mov_b32_e32 v234, 0                                      // 000000006368: 7FD40280
	v_accvgpr_write_b32 a243, 0                                // 00000000636C: D3D940F3 18000080
	v_mov_b32_e32 v235, 0                                      // 000000006374: 7FD60280
	v_accvgpr_write_b32 a244, 0                                // 000000006378: D3D940F4 18000080
	v_mov_b32_e32 v236, 0                                      // 000000006380: 7FD80280
	v_accvgpr_write_b32 a245, 0                                // 000000006384: D3D940F5 18000080
	v_mov_b32_e32 v237, 0                                      // 00000000638C: 7FDA0280
	v_accvgpr_write_b32 a246, 0                                // 000000006390: D3D940F6 18000080
	v_mov_b32_e32 v238, 0                                      // 000000006398: 7FDC0280
	v_accvgpr_write_b32 a247, 0                                // 00000000639C: D3D940F7 18000080
	v_mov_b32_e32 v239, 0                                      // 0000000063A4: 7FDE0280
	v_accvgpr_write_b32 a248, 0                                // 0000000063A8: D3D940F8 18000080
	v_mov_b32_e32 v240, 0                                      // 0000000063B0: 7FE00280
	v_accvgpr_write_b32 a249, 0                                // 0000000063B4: D3D940F9 18000080
	v_mov_b32_e32 v241, 0                                      // 0000000063BC: 7FE20280
	v_accvgpr_write_b32 a250, 0                                // 0000000063C0: D3D940FA 18000080
	v_mov_b32_e32 v242, 0                                      // 0000000063C8: 7FE40280
	v_accvgpr_write_b32 a251, 0                                // 0000000063CC: D3D940FB 18000080
	v_mov_b32_e32 v243, 0                                      // 0000000063D4: 7FE60280
	v_accvgpr_write_b32 a252, 0                                // 0000000063D8: D3D940FC 18000080
	v_mov_b32_e32 v244, 0                                      // 0000000063E0: 7FE80280
	v_accvgpr_write_b32 a253, 0                                // 0000000063E4: D3D940FD 18000080
	v_mov_b32_e32 v245, 0                                      // 0000000063EC: 7FEA0280
	v_accvgpr_write_b32 a254, 0                                // 0000000063F0: D3D940FE 18000080
	v_mov_b32_e32 v246, 0                                      // 0000000063F8: 7FEC0280
	v_accvgpr_write_b32 a255, 0                                // 0000000063FC: D3D940FF 18000080
	v_mov_b32_e32 v247, 0                                      // 000000006404: 7FEE0280
	v_mov_b32_e32 v136, 0                                      // 000000006408: 7F100280
	v_mov_b32_e32 v137, 0                                      // 00000000640C: 7F120280
	v_mov_b32_e32 v138, 0                                      // 000000006410: 7F140280
	v_mov_b32_e32 v139, 0                                      // 000000006414: 7F160280
	v_mov_b32_e32 v140, 0                                      // 000000006418: 7F180280
	v_mov_b32_e32 v141, 0                                      // 00000000641C: 7F1A0280
	v_mov_b32_e32 v142, 0                                      // 000000006420: 7F1C0280
	v_mov_b32_e32 v143, 0                                      // 000000006424: 7F1E0280
	v_mov_b32_e32 v128, 0                                      // 000000006428: 7F000280
	v_mov_b32_e32 v129, 0                                      // 00000000642C: 7F020280
	v_mov_b32_e32 v130, 0                                      // 000000006430: 7F040280
	v_mov_b32_e32 v131, 0                                      // 000000006434: 7F060280
	v_mov_b32_e32 v132, 0                                      // 000000006438: 7F080280
	v_mov_b32_e32 v133, 0                                      // 00000000643C: 7F0A0280
	v_mov_b32_e32 v134, 0                                      // 000000006440: 7F0C0280
	v_mov_b32_e32 v135, 0                                      // 000000006444: 7F0E0280
	s_waitcnt lgkmcnt(0)                                       // 000000006448: BF8CC07F
	s_barrier                                                  // 00000000644C: BF8A0000
	v_mov_b32_e32 v32, 0                                       // 000000006450: 7E400280
	s_mov_b64 exec, s[88:89]                                   // 000000006454: BEFE0158
	buffer_load_dword v32, v1, s[8:11], 0 idxen                // 000000006458: E0502000 80022001
	s_mov_b64 exec, s[86:87]                                   // 000000006460: BEFE0156
	v_mov_b32_e32 v33, 0                                       // 000000006464: 7E420280
	s_mov_b64 exec, s[88:89]                                   // 000000006468: BEFE0158
	buffer_load_dword v33, v2, s[8:11], 0 idxen                // 00000000646C: E0502000 80022102
	s_mov_b64 exec, s[86:87]                                   // 000000006474: BEFE0156
	v_mov_b32_e32 v34, 0                                       // 000000006478: 7E440280
	s_mov_b64 exec, s[88:89]                                   // 00000000647C: BEFE0158
	buffer_load_dword v34, v3, s[8:11], 0 idxen                // 000000006480: E0502000 80022203
	s_mov_b64 exec, s[86:87]                                   // 000000006488: BEFE0156
	v_mov_b32_e32 v35, 0                                       // 00000000648C: 7E460280
	s_mov_b64 exec, s[88:89]                                   // 000000006490: BEFE0158
	buffer_load_dword v35, v4, s[8:11], 0 idxen                // 000000006494: E0502000 80022304
	s_mov_b64 exec, s[86:87]                                   // 00000000649C: BEFE0156
	v_mov_b32_e32 v40, 0                                       // 0000000064A0: 7E500280
	s_mov_b64 exec, s[88:89]                                   // 0000000064A4: BEFE0158
	buffer_load_dword v40, v252, s[20:23], 0 idxen             // 0000000064A8: E0502000 800528FC
	s_mov_b64 exec, s[86:87]                                   // 0000000064B0: BEFE0156
	v_mov_b32_e32 v41, 0                                       // 0000000064B4: 7E520280
	s_mov_b64 exec, s[88:89]                                   // 0000000064B8: BEFE0158
	buffer_load_dword v41, v253, s[20:23], 0 idxen             // 0000000064BC: E0502000 800529FD
	s_mov_b64 exec, s[86:87]                                   // 0000000064C4: BEFE0156
	v_mov_b32_e32 v42, 0                                       // 0000000064C8: 7E540280
	s_mov_b64 exec, s[88:89]                                   // 0000000064CC: BEFE0158
	buffer_load_dword v42, v254, s[20:23], 0 idxen             // 0000000064D0: E0502000 80052AFE
	s_mov_b64 exec, s[86:87]                                   // 0000000064D8: BEFE0156
	v_mov_b32_e32 v43, 0                                       // 0000000064DC: 7E560280
	s_mov_b64 exec, s[88:89]                                   // 0000000064E0: BEFE0158
	buffer_load_dword v43, v255, s[20:23], 0 idxen             // 0000000064E4: E0502000 80052BFF
	s_mov_b64 exec, s[86:87]                                   // 0000000064EC: BEFE0156
	buffer_load_dword v9, s[24:27], 0 idxen lds                // 0000000064F0: E0512000 80060009
	s_mov_b32 m0, s77                                          // 0000000064F8: BEFC004D
	v_add_u32_e32 v9, s69, v9                                  // 0000000064FC: 68121245
	v_add_u32_e32 v1, s68, v1                                  // 000000006500: 68020244
	v_add_u32_e32 v2, s68, v2                                  // 000000006504: 68040444
	v_add_u32_e32 v3, s68, v3                                  // 000000006508: 68060644
	v_add_u32_e32 v4, s68, v4                                  // 00000000650C: 68080844
	v_add_u32_e32 v252, s97, v252                              // 000000006510: 69F9F861
	v_add_u32_e32 v253, s97, v253                              // 000000006514: 69FBFA61
	v_add_u32_e32 v254, s97, v254                              // 000000006518: 69FDFC61
	v_add_u32_e32 v255, s97, v255                              // 00000000651C: 69FFFE61
	v_cmp_eq_u32_e32 vcc, v124, v151                           // 000000006520: 7D952F7C
	v_mov_b32_e32 v28, 0                                       // 000000006524: 7E380280
	v_cndmask_b32_e32 v124, v124, v28, vcc                     // 000000006528: 00F8397C
	v_mul_f32_e32 v124, s48, v124                              // 00000000652C: 0AF8F830
	v_perm_b32 v84, v37, v36, s63                              // 000000006530: D1ED0054 00FE4925
	v_perm_b32 v85, v37, v36, s64                              // 000000006538: D1ED0055 01024925
	v_perm_b32 v86, v39, v38, s63                              // 000000006540: D1ED0056 00FE4D27
	v_perm_b32 v87, v39, v38, s64                              // 000000006548: D1ED0057 01024D27
	v_perm_b32 v88, v45, v44, s63                              // 000000006550: D1ED0058 00FE592D
	v_perm_b32 v89, v45, v44, s64                              // 000000006558: D1ED0059 0102592D
	v_perm_b32 v90, v47, v46, s63                              // 000000006560: D1ED005A 00FE5D2F
	v_perm_b32 v91, v47, v46, s64                              // 000000006568: D1ED005B 01025D2F
	v_mov_b32_dpp v127, v124 quad_perm:[3,3,3,3] row_mask:0xf bank_mask:0xf// 000000006570: 7EFE02FA FF00FF7C
	v_mov_b32_dpp v126, v124 quad_perm:[2,2,2,2] row_mask:0xf bank_mask:0xf// 000000006578: 7EFC02FA FF00AA7C
	v_mov_b32_dpp v125, v124 quad_perm:[1,1,1,1] row_mask:0xf bank_mask:0xf// 000000006580: 7EFA02FA FF00557C
	v_mov_b32_dpp v124, v124 quad_perm:[0,0,0,0] row_mask:0xf bank_mask:0xf// 000000006588: 7EF802FA FF00007C
	s_waitcnt vmcnt(9)                                         // 000000006590: BF8C0F79
	s_barrier                                                  // 000000006594: BF8A0000
	s_cmp_lt_i32 s46, 2                                        // 000000006598: BF04822E
	s_cbranch_scc0 label_12EC                                  // 00000000659C: BF8408F8
	s_nop 0                                                    // 0000000065A0: BF800000
	s_nop 0                                                    // 0000000065A4: BF800000

00000000000065a8 <label_09EA>:
	s_waitcnt lgkmcnt(0)                                       // 0000000065A8: BF8CC07F
	s_barrier                                                  // 0000000065AC: BF8A0000
	v_mfma_f32_16x16x16_bf16 v[48:51], a[144:145], a[0:1], 0   // 0000000065B0: D3E10030 1A020190
	ds_write_b32 v11, v44 offset:8704                          // 0000000065B8: D81A2200 00002C0B
	ds_write_b32 v11, v45 offset:9760                          // 0000000065C0: D81A2620 00002D0B
	v_mfma_f32_16x16x16_bf16 v[48:51], a[146:147], a[2:3], v[48:51]// 0000000065C8: D3E10030 1CC20592
	v_mul_f32_e32 v128, s47, v128                              // 0000000065D0: 0B01002F
	v_mul_f32_e32 v129, s47, v129                              // 0000000065D4: 0B03022F
	v_mfma_f32_16x16x16_bf16 v[48:51], a[148:149], a[4:5], v[48:51]// 0000000065D8: D3E10030 1CC20994
	ds_write_b32 v11, v46 offset:8832                          // 0000000065E0: D81A2280 00002E0B
	ds_write_b32 v11, v47 offset:9888                          // 0000000065E8: D81A26A0 00002F0B
	v_mfma_f32_16x16x16_bf16 v[48:51], a[150:151], a[6:7], v[48:51]// 0000000065F0: D3E10030 1CC20D96
	v_mul_f32_e32 v130, s47, v130                              // 0000000065F8: 0B05042F
	v_mul_f32_e32 v131, s47, v131                              // 0000000065FC: 0B07062F
	v_mfma_f32_16x16x16_bf16 v[48:51], a[152:153], a[8:9], v[48:51]// 000000006600: D3E10030 1CC21198
	ds_write_b64 v20, v[128:129] offset:24320                  // 000000006608: D89A5F00 00008014
	v_mfma_f32_16x16x16_bf16 v[48:51], a[154:155], a[10:11], v[48:51]// 000000006610: D3E10030 1CC2159A
	v_mul_f32_e32 v132, s47, v132                              // 000000006618: 0B09082F
	v_mul_f32_e32 v133, s47, v133                              // 00000000661C: 0B0B0A2F
	v_mfma_f32_16x16x16_bf16 v[48:51], a[156:157], a[12:13], v[48:51]// 000000006620: D3E10030 1CC2199C
	ds_write_b64 v20, v[130:131] offset:24832                  // 000000006628: D89A6100 00008214
	v_mfma_f32_16x16x16_bf16 v[48:51], a[158:159], a[14:15], v[48:51]// 000000006630: D3E10030 1CC21D9E
	v_mul_f32_e32 v134, s47, v134                              // 000000006638: 0B0D0C2F
	v_mul_f32_e32 v135, s47, v135                              // 00000000663C: 0B0F0E2F
	v_mfma_f32_16x16x16_bf16 v[52:55], a[144:145], a[16:17], 0 // 000000006640: D3E10034 1A022190
	ds_write_b64 v20, v[132:133] offset:25344                  // 000000006648: D89A6300 00008414
	v_mfma_f32_16x16x16_bf16 v[52:55], a[146:147], a[18:19], v[52:55]// 000000006650: D3E10034 1CD22592
	buffer_atomic_add_f32 v140, v7, s[32:35], 0 offen offset:256// 000000006658: E1341100 80088C07
	v_mfma_f32_16x16x16_bf16 v[52:55], a[148:149], a[20:21], v[52:55]// 000000006660: D3E10034 1CD22994
	ds_write_b64 v20, v[134:135] offset:25856                  // 000000006668: D89A6500 00008614
	v_mfma_f32_16x16x16_bf16 v[52:55], a[150:151], a[22:23], v[52:55]// 000000006670: D3E10034 1CD22D96
	v_mfma_f32_16x16x16_bf16 v[52:55], a[152:153], a[24:25], v[52:55]// 000000006678: D3E10034 1CD23198
	ds_read_b128 v[108:111], v12 offset:13056                  // 000000006680: D9FE3300 6C00000C
	ds_write_b32 v11, v36                                      // 000000006688: D81A0000 0000240B
	v_mfma_f32_16x16x16_bf16 v[52:55], a[154:155], a[26:27], v[52:55]// 000000006690: D3E10034 1CD2359A
	buffer_atomic_add_f32 v141, v8, s[32:35], 0 offen offset:256// 000000006698: E1341100 80088D08
	v_mfma_f32_16x16x16_bf16 v[52:55], a[156:157], a[28:29], v[52:55]// 0000000066A0: D3E10034 1CD2399C
	v_mfma_f32_16x16x16_bf16 v[52:55], a[158:159], a[30:31], v[52:55]// 0000000066A8: D3E10034 1CD23D9E
	ds_read_b128 v[112:115], v12 offset:13568                  // 0000000066B0: D9FE3500 7000000C
	ds_write_b32 v11, v37 offset:1056                          // 0000000066B8: D81A0420 0000250B
	v_mfma_f32_16x16x16_bf16 v[56:59], a[144:145], a[32:33], 0 // 0000000066C0: D3E10038 1A024190
	buffer_atomic_add_f32 v142, v7, s[32:35], 0 offen offset:384// 0000000066C8: E1341180 80088E07
	v_mfma_f32_16x16x16_bf16 v[56:59], a[146:147], a[34:35], v[56:59]// 0000000066D0: D3E10038 1CE24592
	v_mfma_f32_16x16x16_bf16 v[56:59], a[148:149], a[36:37], v[56:59]// 0000000066D8: D3E10038 1CE24994
	ds_read_b128 v[116:119], v12 offset:15232                  // 0000000066E0: D9FE3B80 7400000C
	ds_write_b32 v11, v38 offset:128                           // 0000000066E8: D81A0080 0000260B
	v_mfma_f32_16x16x16_bf16 v[56:59], a[150:151], a[38:39], v[56:59]// 0000000066F0: D3E10038 1CE24D96
	v_mfma_f32_16x16x16_bf16 v[56:59], a[152:153], a[40:41], v[56:59]// 0000000066F8: D3E10038 1CE25198
	buffer_atomic_add_f32 v143, v8, s[32:35], 0 offen offset:384// 000000006700: E1341180 80088F08
	v_mfma_f32_16x16x16_bf16 v[56:59], a[154:155], a[42:43], v[56:59]// 000000006708: D3E10038 1CE2559A
	ds_read_b128 v[120:123], v12 offset:15744                  // 000000006710: D9FE3D80 7800000C
	ds_write_b32 v11, v39 offset:1184                          // 000000006718: D81A04A0 0000270B
	v_mfma_f32_16x16x16_bf16 v[56:59], a[156:157], a[44:45], v[56:59]// 000000006720: D3E10038 1CE2599C
	v_mfma_f32_16x16x16_bf16 v[56:59], a[158:159], a[46:47], v[56:59]// 000000006728: D3E10038 1CE25D9E
	s_add_i32 s82, s59, s99                                    // 000000006730: 8152633B
	s_sub_i32 s82, s82, 1                                      // 000000006734: 81D28152
	s_add_i32 s81, s59, 16                                     // 000000006738: 8151903B
	s_sub_i32 s81, s81, s100                                   // 00000000673C: 81D16451
	s_add_i32 s81, s81, 1                                      // 000000006740: 81518151
	s_branch label_0A52                                        // 000000006744: BF820000

0000000000006748 <label_0A52>:
	s_add_i32 s62, 0, s46                                      // 000000006748: 813E2E80
	s_mul_i32 s62, s62, 16                                     // 00000000674C: 923E903E
	s_add_i32 s62, s80, s62                                    // 000000006750: 813E3E50
	s_add_i32 s61, s62, 16                                     // 000000006754: 813D903E
	s_add_i32 s61, s61, 16                                     // 000000006758: 813D903D
	s_cmp_lt_i32 s61, s81                                      // 00000000675C: BF04513D
	s_cselect_b32 s60, 1, 0                                    // 000000006760: 853C8081
	s_sub_i32 s62, s62, 16                                     // 000000006764: 81BE903E
	s_cmp_gt_i32 s62, s82                                      // 000000006768: BF02523E
	s_cselect_b32 s61, 1, 0                                    // 00000000676C: 853D8081
	s_or_b32 s60, s60, s61                                     // 000000006770: 873C3D3C
	s_cmp_eq_i32 s60, 1                                        // 000000006774: BF00813C
	s_cbranch_scc1 label_0AE5                                  // 000000006778: BF850085
	s_add_i32 s61, s62, 32                                     // 00000000677C: 813DA03E
	s_add_i32 s62, s62, 16                                     // 000000006780: 813E903E
	s_cmp_lt_i32 s62, s81                                      // 000000006784: BF04513E
	s_cselect_b32 s60, 1, 0                                    // 000000006788: 853C8081
	s_cmp_gt_i32 s61, s82                                      // 00000000678C: BF02523D
	s_cselect_b32 s61, 1, 0                                    // 000000006790: 853D8081
	s_or_b32 s60, s60, s61                                     // 000000006794: 873C3D3C
	s_cmp_eq_i32 s60, 1                                        // 000000006798: BF00813C
	s_cbranch_scc1 label_0A98                                  // 00000000679C: BF85002F
	s_branch label_0A69                                        // 0000000067A0: BF820000

00000000000067a4 <label_0A69>:
	s_add_i32 s62, 4, s46                                      // 0000000067A4: 813E2E84
	s_mul_i32 s62, s62, 16                                     // 0000000067A8: 923E903E
	s_add_i32 s62, s80, s62                                    // 0000000067AC: 813E3E50
	s_add_i32 s61, s62, 16                                     // 0000000067B0: 813D903E
	s_add_i32 s61, s61, 16                                     // 0000000067B4: 813D903D
	s_cmp_lt_i32 s61, s81                                      // 0000000067B8: BF04513D
	s_cselect_b32 s60, 1, 0                                    // 0000000067BC: 853C8081
	s_sub_i32 s62, s62, 16                                     // 0000000067C0: 81BE903E
	s_cmp_gt_i32 s62, s82                                      // 0000000067C4: BF02523E
	s_cselect_b32 s61, 1, 0                                    // 0000000067C8: 853D8081
	s_or_b32 s60, s60, s61                                     // 0000000067CC: 873C3D3C
	s_cmp_eq_i32 s60, 1                                        // 0000000067D0: BF00813C
	s_cbranch_scc1 label_0B37                                  // 0000000067D4: BF8500C0
	s_add_i32 s61, s62, 32                                     // 0000000067D8: 813DA03E
	s_add_i32 s62, s62, 16                                     // 0000000067DC: 813E903E
	s_cmp_lt_i32 s62, s81                                      // 0000000067E0: BF04513E
	s_cselect_b32 s60, 1, 0                                    // 0000000067E4: 853C8081
	s_cmp_gt_i32 s61, s82                                      // 0000000067E8: BF02523D
	s_cselect_b32 s61, 1, 0                                    // 0000000067EC: 853D8081
	s_or_b32 s60, s60, s61                                     // 0000000067F0: 873C3D3C
	s_cmp_eq_i32 s60, 1                                        // 0000000067F4: BF00813C
	s_cbranch_scc1 label_0AEA                                  // 0000000067F8: BF85006A
	s_branch label_0A80                                        // 0000000067FC: BF820000

0000000000006800 <label_0A80>:
	s_add_i32 s62, 8, s46                                      // 000000006800: 813E2E88
	s_mul_i32 s62, s62, 16                                     // 000000006804: 923E903E
	s_add_i32 s62, s80, s62                                    // 000000006808: 813E3E50
	s_add_i32 s61, s62, 16                                     // 00000000680C: 813D903E
	s_add_i32 s61, s61, 16                                     // 000000006810: 813D903D
	s_cmp_lt_i32 s61, s81                                      // 000000006814: BF04513D
	s_cselect_b32 s60, 1, 0                                    // 000000006818: 853C8081
	s_sub_i32 s62, s62, 16                                     // 00000000681C: 81BE903E
	s_cmp_gt_i32 s62, s82                                      // 000000006820: BF02523E
	s_cselect_b32 s61, 1, 0                                    // 000000006824: 853D8081
	s_or_b32 s60, s60, s61                                     // 000000006828: 873C3D3C
	s_cmp_eq_i32 s60, 1                                        // 00000000682C: BF00813C
	s_cbranch_scc1 label_0B89                                  // 000000006830: BF8500FB
	s_add_i32 s61, s62, 32                                     // 000000006834: 813DA03E
	s_add_i32 s62, s62, 16                                     // 000000006838: 813E903E
	s_cmp_lt_i32 s62, s81                                      // 00000000683C: BF04513E
	s_cselect_b32 s60, 1, 0                                    // 000000006840: 853C8081
	s_cmp_gt_i32 s61, s82                                      // 000000006844: BF02523D
	s_cselect_b32 s61, 1, 0                                    // 000000006848: 853D8081
	s_or_b32 s60, s60, s61                                     // 00000000684C: 873C3D3C
	s_cmp_eq_i32 s60, 1                                        // 000000006850: BF00813C
	s_cbranch_scc1 label_0B3C                                  // 000000006854: BF8500A5
	s_branch label_0B8E                                        // 000000006858: BF8200F6

000000000000685c <label_0A98>:
	v_and_b32_e32 v28, 15, v0                                  // 00000000685C: 2638008F
	v_add_u32_e32 v28, s62, v28                                // 000000006860: 6838383E
	v_lshrrev_b32_e32 v29, 4, v0                               // 000000006864: 203A0084
	v_lshlrev_b32_e32 v29, 2, v29                              // 000000006868: 243A3A82
	v_add_i32 v29, 0, v29                                      // 00000000686C: D29C001D 00023A80
	v_add_i32 v29, s59, v29                                    // 000000006874: D29C001D 00023A3B
	v_sub_i32 v29, v29, v28                                    // 00000000687C: D29D001D 0002391D
	v_cmp_ge_i32_e64 vcc, v29, s100                            // 000000006884: D0C6006A 0000C91D
	v_sub_i32 v29, 0, v29                                      // 00000000688C: D29D001D 00023A80
	v_cndmask_b32_e32 v48, v48, v151, vcc                      // 000000006894: 00612F30
	v_cmp_ge_i32_e64 vcc, v29, s99                             // 000000006898: D0C6006A 0000C71D
	s_nop 1                                                    // 0000000068A0: BF800001
	v_cndmask_b32_e32 v48, v48, v151, vcc                      // 0000000068A4: 00612F30
	v_and_b32_e32 v28, 15, v0                                  // 0000000068A8: 2638008F
	v_add_u32_e32 v28, s62, v28                                // 0000000068AC: 6838383E
	v_lshrrev_b32_e32 v29, 4, v0                               // 0000000068B0: 203A0084
	v_lshlrev_b32_e32 v29, 2, v29                              // 0000000068B4: 243A3A82
	v_add_i32 v29, 1, v29                                      // 0000000068B8: D29C001D 00023A81
	v_add_i32 v29, s59, v29                                    // 0000000068C0: D29C001D 00023A3B
	v_sub_i32 v29, v29, v28                                    // 0000000068C8: D29D001D 0002391D
	v_cmp_ge_i32_e64 vcc, v29, s100                            // 0000000068D0: D0C6006A 0000C91D
	v_sub_i32 v29, 0, v29                                      // 0000000068D8: D29D001D 00023A80
	v_cndmask_b32_e32 v49, v49, v151, vcc                      // 0000000068E0: 00632F31
	v_cmp_ge_i32_e64 vcc, v29, s99                             // 0000000068E4: D0C6006A 0000C71D
	s_nop 1                                                    // 0000000068EC: BF800001
	v_cndmask_b32_e32 v49, v49, v151, vcc                      // 0000000068F0: 00632F31
	v_and_b32_e32 v28, 15, v0                                  // 0000000068F4: 2638008F
	v_add_u32_e32 v28, s62, v28                                // 0000000068F8: 6838383E
	v_lshrrev_b32_e32 v29, 4, v0                               // 0000000068FC: 203A0084
	v_lshlrev_b32_e32 v29, 2, v29                              // 000000006900: 243A3A82
	v_add_i32 v29, 2, v29                                      // 000000006904: D29C001D 00023A82
	v_add_i32 v29, s59, v29                                    // 00000000690C: D29C001D 00023A3B
	v_sub_i32 v29, v29, v28                                    // 000000006914: D29D001D 0002391D
	v_cmp_ge_i32_e64 vcc, v29, s100                            // 00000000691C: D0C6006A 0000C91D
	v_sub_i32 v29, 0, v29                                      // 000000006924: D29D001D 00023A80
	v_cndmask_b32_e32 v50, v50, v151, vcc                      // 00000000692C: 00652F32
	v_cmp_ge_i32_e64 vcc, v29, s99                             // 000000006930: D0C6006A 0000C71D
	s_nop 1                                                    // 000000006938: BF800001
	v_cndmask_b32_e32 v50, v50, v151, vcc                      // 00000000693C: 00652F32
	v_and_b32_e32 v28, 15, v0                                  // 000000006940: 2638008F
	v_add_u32_e32 v28, s62, v28                                // 000000006944: 6838383E
	v_lshrrev_b32_e32 v29, 4, v0                               // 000000006948: 203A0084
	v_lshlrev_b32_e32 v29, 2, v29                              // 00000000694C: 243A3A82
	v_add_i32 v29, 3, v29                                      // 000000006950: D29C001D 00023A83
	v_add_i32 v29, s59, v29                                    // 000000006958: D29C001D 00023A3B
	v_sub_i32 v29, v29, v28                                    // 000000006960: D29D001D 0002391D
	v_cmp_ge_i32_e64 vcc, v29, s100                            // 000000006968: D0C6006A 0000C91D
	v_sub_i32 v29, 0, v29                                      // 000000006970: D29D001D 00023A80
	v_cndmask_b32_e32 v51, v51, v151, vcc                      // 000000006978: 00672F33
	v_cmp_ge_i32_e64 vcc, v29, s99                             // 00000000697C: D0C6006A 0000C71D
	s_nop 1                                                    // 000000006984: BF800001
	v_cndmask_b32_e32 v51, v51, v151, vcc                      // 000000006988: 00672F33
	s_branch label_0A69                                        // 00000000698C: BF82FF85

0000000000006990 <label_0AE5>:
	v_mov_b32_e32 v48, v151                                    // 000000006990: 7E600397
	v_mov_b32_e32 v49, v151                                    // 000000006994: 7E620397
	v_mov_b32_e32 v50, v151                                    // 000000006998: 7E640397
	v_mov_b32_e32 v51, v151                                    // 00000000699C: 7E660397
	s_branch label_0A69                                        // 0000000069A0: BF82FF80

00000000000069a4 <label_0AEA>:
	v_and_b32_e32 v28, 15, v0                                  // 0000000069A4: 2638008F
	v_add_u32_e32 v28, s62, v28                                // 0000000069A8: 6838383E
	v_lshrrev_b32_e32 v29, 4, v0                               // 0000000069AC: 203A0084
	v_lshlrev_b32_e32 v29, 2, v29                              // 0000000069B0: 243A3A82
	v_add_i32 v29, 0, v29                                      // 0000000069B4: D29C001D 00023A80
	v_add_i32 v29, s59, v29                                    // 0000000069BC: D29C001D 00023A3B
	v_sub_i32 v29, v29, v28                                    // 0000000069C4: D29D001D 0002391D
	v_cmp_ge_i32_e64 vcc, v29, s100                            // 0000000069CC: D0C6006A 0000C91D
	v_sub_i32 v29, 0, v29                                      // 0000000069D4: D29D001D 00023A80
	v_cndmask_b32_e32 v52, v52, v151, vcc                      // 0000000069DC: 00692F34
	v_cmp_ge_i32_e64 vcc, v29, s99                             // 0000000069E0: D0C6006A 0000C71D
	s_nop 1                                                    // 0000000069E8: BF800001
	v_cndmask_b32_e32 v52, v52, v151, vcc                      // 0000000069EC: 00692F34
	v_and_b32_e32 v28, 15, v0                                  // 0000000069F0: 2638008F
	v_add_u32_e32 v28, s62, v28                                // 0000000069F4: 6838383E
	v_lshrrev_b32_e32 v29, 4, v0                               // 0000000069F8: 203A0084
	v_lshlrev_b32_e32 v29, 2, v29                              // 0000000069FC: 243A3A82
	v_add_i32 v29, 1, v29                                      // 000000006A00: D29C001D 00023A81
	v_add_i32 v29, s59, v29                                    // 000000006A08: D29C001D 00023A3B
	v_sub_i32 v29, v29, v28                                    // 000000006A10: D29D001D 0002391D
	v_cmp_ge_i32_e64 vcc, v29, s100                            // 000000006A18: D0C6006A 0000C91D
	v_sub_i32 v29, 0, v29                                      // 000000006A20: D29D001D 00023A80
	v_cndmask_b32_e32 v53, v53, v151, vcc                      // 000000006A28: 006B2F35
	v_cmp_ge_i32_e64 vcc, v29, s99                             // 000000006A2C: D0C6006A 0000C71D
	s_nop 1                                                    // 000000006A34: BF800001
	v_cndmask_b32_e32 v53, v53, v151, vcc                      // 000000006A38: 006B2F35
	v_and_b32_e32 v28, 15, v0                                  // 000000006A3C: 2638008F
	v_add_u32_e32 v28, s62, v28                                // 000000006A40: 6838383E
	v_lshrrev_b32_e32 v29, 4, v0                               // 000000006A44: 203A0084
	v_lshlrev_b32_e32 v29, 2, v29                              // 000000006A48: 243A3A82
	v_add_i32 v29, 2, v29                                      // 000000006A4C: D29C001D 00023A82
	v_add_i32 v29, s59, v29                                    // 000000006A54: D29C001D 00023A3B
	v_sub_i32 v29, v29, v28                                    // 000000006A5C: D29D001D 0002391D
	v_cmp_ge_i32_e64 vcc, v29, s100                            // 000000006A64: D0C6006A 0000C91D
	v_sub_i32 v29, 0, v29                                      // 000000006A6C: D29D001D 00023A80
	v_cndmask_b32_e32 v54, v54, v151, vcc                      // 000000006A74: 006D2F36
	v_cmp_ge_i32_e64 vcc, v29, s99                             // 000000006A78: D0C6006A 0000C71D
	s_nop 1                                                    // 000000006A80: BF800001
	v_cndmask_b32_e32 v54, v54, v151, vcc                      // 000000006A84: 006D2F36
	v_and_b32_e32 v28, 15, v0                                  // 000000006A88: 2638008F
	v_add_u32_e32 v28, s62, v28                                // 000000006A8C: 6838383E
	v_lshrrev_b32_e32 v29, 4, v0                               // 000000006A90: 203A0084
	v_lshlrev_b32_e32 v29, 2, v29                              // 000000006A94: 243A3A82
	v_add_i32 v29, 3, v29                                      // 000000006A98: D29C001D 00023A83
	v_add_i32 v29, s59, v29                                    // 000000006AA0: D29C001D 00023A3B
	v_sub_i32 v29, v29, v28                                    // 000000006AA8: D29D001D 0002391D
	v_cmp_ge_i32_e64 vcc, v29, s100                            // 000000006AB0: D0C6006A 0000C91D
	v_sub_i32 v29, 0, v29                                      // 000000006AB8: D29D001D 00023A80
	v_cndmask_b32_e32 v55, v55, v151, vcc                      // 000000006AC0: 006F2F37
	v_cmp_ge_i32_e64 vcc, v29, s99                             // 000000006AC4: D0C6006A 0000C71D
	s_nop 1                                                    // 000000006ACC: BF800001
	v_cndmask_b32_e32 v55, v55, v151, vcc                      // 000000006AD0: 006F2F37
	s_branch label_0A80                                        // 000000006AD4: BF82FF4A

0000000000006ad8 <label_0B37>:
	v_mov_b32_e32 v52, v151                                    // 000000006AD8: 7E680397
	v_mov_b32_e32 v53, v151                                    // 000000006ADC: 7E6A0397
	v_mov_b32_e32 v54, v151                                    // 000000006AE0: 7E6C0397
	v_mov_b32_e32 v55, v151                                    // 000000006AE4: 7E6E0397
	s_branch label_0A80                                        // 000000006AE8: BF82FF45

0000000000006aec <label_0B3C>:
	v_and_b32_e32 v28, 15, v0                                  // 000000006AEC: 2638008F
	v_add_u32_e32 v28, s62, v28                                // 000000006AF0: 6838383E
	v_lshrrev_b32_e32 v29, 4, v0                               // 000000006AF4: 203A0084
	v_lshlrev_b32_e32 v29, 2, v29                              // 000000006AF8: 243A3A82
	v_add_i32 v29, 0, v29                                      // 000000006AFC: D29C001D 00023A80
	v_add_i32 v29, s59, v29                                    // 000000006B04: D29C001D 00023A3B
	v_sub_i32 v29, v29, v28                                    // 000000006B0C: D29D001D 0002391D
	v_cmp_ge_i32_e64 vcc, v29, s100                            // 000000006B14: D0C6006A 0000C91D
	v_sub_i32 v29, 0, v29                                      // 000000006B1C: D29D001D 00023A80
	v_cndmask_b32_e32 v56, v56, v151, vcc                      // 000000006B24: 00712F38
	v_cmp_ge_i32_e64 vcc, v29, s99                             // 000000006B28: D0C6006A 0000C71D
	s_nop 1                                                    // 000000006B30: BF800001
	v_cndmask_b32_e32 v56, v56, v151, vcc                      // 000000006B34: 00712F38
	v_and_b32_e32 v28, 15, v0                                  // 000000006B38: 2638008F
	v_add_u32_e32 v28, s62, v28                                // 000000006B3C: 6838383E
	v_lshrrev_b32_e32 v29, 4, v0                               // 000000006B40: 203A0084
	v_lshlrev_b32_e32 v29, 2, v29                              // 000000006B44: 243A3A82
	v_add_i32 v29, 1, v29                                      // 000000006B48: D29C001D 00023A81
	v_add_i32 v29, s59, v29                                    // 000000006B50: D29C001D 00023A3B
	v_sub_i32 v29, v29, v28                                    // 000000006B58: D29D001D 0002391D
	v_cmp_ge_i32_e64 vcc, v29, s100                            // 000000006B60: D0C6006A 0000C91D
	v_sub_i32 v29, 0, v29                                      // 000000006B68: D29D001D 00023A80
	v_cndmask_b32_e32 v57, v57, v151, vcc                      // 000000006B70: 00732F39
	v_cmp_ge_i32_e64 vcc, v29, s99                             // 000000006B74: D0C6006A 0000C71D
	s_nop 1                                                    // 000000006B7C: BF800001
	v_cndmask_b32_e32 v57, v57, v151, vcc                      // 000000006B80: 00732F39
	v_and_b32_e32 v28, 15, v0                                  // 000000006B84: 2638008F
	v_add_u32_e32 v28, s62, v28                                // 000000006B88: 6838383E
	v_lshrrev_b32_e32 v29, 4, v0                               // 000000006B8C: 203A0084
	v_lshlrev_b32_e32 v29, 2, v29                              // 000000006B90: 243A3A82
	v_add_i32 v29, 2, v29                                      // 000000006B94: D29C001D 00023A82
	v_add_i32 v29, s59, v29                                    // 000000006B9C: D29C001D 00023A3B
	v_sub_i32 v29, v29, v28                                    // 000000006BA4: D29D001D 0002391D
	v_cmp_ge_i32_e64 vcc, v29, s100                            // 000000006BAC: D0C6006A 0000C91D
	v_sub_i32 v29, 0, v29                                      // 000000006BB4: D29D001D 00023A80
	v_cndmask_b32_e32 v58, v58, v151, vcc                      // 000000006BBC: 00752F3A
	v_cmp_ge_i32_e64 vcc, v29, s99                             // 000000006BC0: D0C6006A 0000C71D
	s_nop 1                                                    // 000000006BC8: BF800001
	v_cndmask_b32_e32 v58, v58, v151, vcc                      // 000000006BCC: 00752F3A
	v_and_b32_e32 v28, 15, v0                                  // 000000006BD0: 2638008F
	v_add_u32_e32 v28, s62, v28                                // 000000006BD4: 6838383E
	v_lshrrev_b32_e32 v29, 4, v0                               // 000000006BD8: 203A0084
	v_lshlrev_b32_e32 v29, 2, v29                              // 000000006BDC: 243A3A82
	v_add_i32 v29, 3, v29                                      // 000000006BE0: D29C001D 00023A83
	v_add_i32 v29, s59, v29                                    // 000000006BE8: D29C001D 00023A3B
	v_sub_i32 v29, v29, v28                                    // 000000006BF0: D29D001D 0002391D
	v_cmp_ge_i32_e64 vcc, v29, s100                            // 000000006BF8: D0C6006A 0000C91D
	v_sub_i32 v29, 0, v29                                      // 000000006C00: D29D001D 00023A80
	v_cndmask_b32_e32 v59, v59, v151, vcc                      // 000000006C08: 00772F3B
	v_cmp_ge_i32_e64 vcc, v29, s99                             // 000000006C0C: D0C6006A 0000C71D
	s_nop 1                                                    // 000000006C14: BF800001
	v_cndmask_b32_e32 v59, v59, v151, vcc                      // 000000006C18: 00772F3B
	s_branch label_0B8E                                        // 000000006C1C: BF820005

0000000000006c20 <label_0B89>:
	v_mov_b32_e32 v56, v151                                    // 000000006C20: 7E700397
	v_mov_b32_e32 v57, v151                                    // 000000006C24: 7E720397
	v_mov_b32_e32 v58, v151                                    // 000000006C28: 7E740397
	v_mov_b32_e32 v59, v151                                    // 000000006C2C: 7E760397
	s_branch label_0B8E                                        // 000000006C30: BF820000

0000000000006c34 <label_0B8E>:
	s_cmp_lt_i32 s94, 0xc0                                     // 000000006C34: BF04FF5E 000000C0
	s_cbranch_scc0 label_0BE3                                  // 000000006C3C: BF84004D
	s_cmp_le_i32 s94, 64                                       // 000000006C40: BF05C05E
	s_cbranch_scc1 label_0B9A                                  // 000000006C44: BF850007
	s_cmp_le_i32 s94, 0x80                                     // 000000006C48: BF05FF5E 00000080
	s_cbranch_scc1 label_0BB2                                  // 000000006C50: BF850017
	s_cmp_lt_i32 s94, 0xc0                                     // 000000006C54: BF04FF5E 000000C0
	s_cbranch_scc1 label_0BCA                                  // 000000006C5C: BF85002C
	s_branch label_0BE3                                        // 000000006C60: BF820044

0000000000006c64 <label_0B9A>:
	s_mov_b32 s60, 0                                           // 000000006C64: BEBC0080
	v_and_b32_e32 v28, 15, v0                                  // 000000006C68: 2638008F
	v_add_u32_e64 v28, v28, s60                                // 000000006C6C: D134001C 0000791C
	v_mul_i32_i24_e64 v29, s46, 16                             // 000000006C74: D106001D 0001202E
	v_add_u32_e32 v28, v28, v29                                // 000000006C7C: 68383B1C
	v_cmp_lt_u32_e64 s[60:61], v28, s94                        // 000000006C80: D0C9003C 0000BD1C
	s_nop 1                                                    // 000000006C88: BF800001
	v_cndmask_b32_e64 v48, v151, v48, s[60:61]                 // 000000006C8C: D1000030 00F26197
	v_cndmask_b32_e64 v49, v151, v49, s[60:61]                 // 000000006C94: D1000031 00F26397
	v_cndmask_b32_e64 v50, v151, v50, s[60:61]                 // 000000006C9C: D1000032 00F26597
	v_cndmask_b32_e64 v51, v151, v51, s[60:61]                 // 000000006CA4: D1000033 00F26797
	s_branch label_0BC5                                        // 000000006CAC: BF820013

0000000000006cb0 <label_0BB2>:
	s_mov_b32 s60, 64                                          // 000000006CB0: BEBC00C0
	v_and_b32_e32 v28, 15, v0                                  // 000000006CB4: 2638008F
	v_add_u32_e64 v28, v28, s60                                // 000000006CB8: D134001C 0000791C
	v_mul_i32_i24_e64 v29, s46, 16                             // 000000006CC0: D106001D 0001202E
	v_add_u32_e32 v28, v28, v29                                // 000000006CC8: 68383B1C
	v_cmp_lt_u32_e64 s[60:61], v28, s94                        // 000000006CCC: D0C9003C 0000BD1C
	s_nop 1                                                    // 000000006CD4: BF800001
	v_cndmask_b32_e64 v52, v151, v52, s[60:61]                 // 000000006CD8: D1000034 00F26997
	v_cndmask_b32_e64 v53, v151, v53, s[60:61]                 // 000000006CE0: D1000035 00F26B97
	v_cndmask_b32_e64 v54, v151, v54, s[60:61]                 // 000000006CE8: D1000036 00F26D97
	v_cndmask_b32_e64 v55, v151, v55, s[60:61]                 // 000000006CF0: D1000037 00F26F97
	s_branch label_0BDE                                        // 000000006CF8: BF820019

0000000000006cfc <label_0BC5>:
	v_mov_b32_e32 v52, v151                                    // 000000006CFC: 7E680397
	v_mov_b32_e32 v53, v151                                    // 000000006D00: 7E6A0397
	v_mov_b32_e32 v54, v151                                    // 000000006D04: 7E6C0397
	v_mov_b32_e32 v55, v151                                    // 000000006D08: 7E6E0397
	s_branch label_0BDE                                        // 000000006D0C: BF820014

0000000000006d10 <label_0BCA>:
	s_mov_b32 s60, 0x80                                        // 000000006D10: BEBC00FF 00000080
	v_and_b32_e32 v28, 15, v0                                  // 000000006D18: 2638008F
	v_add_u32_e64 v28, v28, s60                                // 000000006D1C: D134001C 0000791C
	v_mul_i32_i24_e64 v29, s46, 16                             // 000000006D24: D106001D 0001202E
	v_add_u32_e32 v28, v28, v29                                // 000000006D2C: 68383B1C
	v_cmp_lt_u32_e64 s[60:61], v28, s94                        // 000000006D30: D0C9003C 0000BD1C
	s_nop 1                                                    // 000000006D38: BF800001
	v_cndmask_b32_e64 v56, v151, v56, s[60:61]                 // 000000006D3C: D1000038 00F27197
	v_cndmask_b32_e64 v57, v151, v57, s[60:61]                 // 000000006D44: D1000039 00F27397
	v_cndmask_b32_e64 v58, v151, v58, s[60:61]                 // 000000006D4C: D100003A 00F27597
	v_cndmask_b32_e64 v59, v151, v59, s[60:61]                 // 000000006D54: D100003B 00F27797
	s_branch label_0BE3                                        // 000000006D5C: BF820005

0000000000006d60 <label_0BDE>:
	v_mov_b32_e32 v56, v151                                    // 000000006D60: 7E700397
	v_mov_b32_e32 v57, v151                                    // 000000006D64: 7E720397
	v_mov_b32_e32 v58, v151                                    // 000000006D68: 7E740397
	v_mov_b32_e32 v59, v151                                    // 000000006D6C: 7E760397
	s_branch label_0BE3                                        // 000000006D70: BF820000

0000000000006d74 <label_0BE3>:
	s_waitcnt lgkmcnt(8)                                       // 000000006D74: BF8CC87F
	s_barrier                                                  // 000000006D78: BF8A0000
	v_mfma_f32_16x16x16_bf16 v[72:75], v[92:93], a[96:97], 0   // 000000006D7C: D3E10048 1202C15C
	ds_read_b128 a[144:147], v12 offset:4352                   // 000000006D84: DBFE1100 9000000C
	ds_read_b128 a[148:151], v12 offset:4864                   // 000000006D8C: DBFE1300 9400000C
	v_mfma_f32_16x16x16_bf16 v[72:75], v[94:95], a[98:99], v[72:75]// 000000006D94: D3E10048 1522C55E
	v_fma_f32 v48, v48, s57, -v124                             // 000000006D9C: D1CB0030 85F07330
	v_fma_f32 v49, v49, s57, -v125                             // 000000006DA4: D1CB0031 85F47331
	v_fma_f32 v50, v50, s57, -v126                             // 000000006DAC: D1CB0032 85F87332
	v_mfma_f32_16x16x16_bf16 v[72:75], v[96:97], a[100:101], v[72:75]// 000000006DB4: D3E10048 1522C960
	v_fma_f32 v51, v51, s57, -v127                             // 000000006DBC: D1CB0033 85FC7333
	v_fma_f32 v52, v52, s57, -v124                             // 000000006DC4: D1CB0034 85F07334
	v_fma_f32 v53, v53, s57, -v125                             // 000000006DCC: D1CB0035 85F47335
	v_mfma_f32_16x16x16_bf16 v[72:75], v[98:99], a[102:103], v[72:75]// 000000006DD4: D3E10048 1522CD62
	v_fma_f32 v54, v54, s57, -v126                             // 000000006DDC: D1CB0036 85F87336
	v_fma_f32 v55, v55, s57, -v127                             // 000000006DE4: D1CB0037 85FC7337
	v_fma_f32 v56, v56, s57, -v124                             // 000000006DEC: D1CB0038 85F07338
	v_mfma_f32_16x16x16_bf16 v[72:75], v[100:101], a[104:105], v[72:75]// 000000006DF4: D3E10048 1522D164
	ds_read_b128 a[152:155], v12 offset:6528                   // 000000006DFC: DBFE1980 9800000C
	ds_read_b128 a[156:159], v12 offset:7040                   // 000000006E04: DBFE1B80 9C00000C
	v_mfma_f32_16x16x16_bf16 v[72:75], v[102:103], a[106:107], v[72:75]// 000000006E0C: D3E10048 1522D566
	v_fma_f32 v57, v57, s57, -v125                             // 000000006E14: D1CB0039 85F47339
	v_fma_f32 v58, v58, s57, -v126                             // 000000006E1C: D1CB003A 85F8733A
	v_fma_f32 v59, v59, s57, -v127                             // 000000006E24: D1CB003B 85FC733B
	v_mfma_f32_16x16x16_bf16 v[72:75], v[104:105], a[108:109], v[72:75]// 000000006E2C: D3E10048 1522D968
	v_exp_f32_e32 v48, v48                                     // 000000006E34: 7E604130
	v_mfma_f32_16x16x16_bf16 v[72:75], v[106:107], a[110:111], v[72:75]// 000000006E38: D3E10048 1522DD6A
	v_exp_f32_e32 v49, v49                                     // 000000006E40: 7E624131
	v_mfma_f32_16x16x16_bf16 v[76:79], v[92:93], a[112:113], 0 // 000000006E44: D3E1004C 1202E15C
	ds_read_b64 v[136:137], v19 offset:24320                   // 000000006E4C: D8EC5F00 88000013
	ds_read_b64 v[138:139], v19 offset:26368                   // 000000006E54: D8EC6700 8A000013
	v_mfma_f32_16x16x16_bf16 v[76:79], v[94:95], a[114:115], v[76:79]// 000000006E5C: D3E1004C 1532E55E
	v_exp_f32_e32 v50, v50                                     // 000000006E64: 7E644132
	v_mfma_f32_16x16x16_bf16 v[76:79], v[96:97], a[116:117], v[76:79]// 000000006E68: D3E1004C 1532E960
	ds_read_b64 v[140:141], v19 offset:28416                   // 000000006E70: D8EC6F00 8C000013
	ds_read_b64 v[142:143], v19 offset:30464                   // 000000006E78: D8EC7700 8E000013
	v_mfma_f32_16x16x16_bf16 v[76:79], v[98:99], a[118:119], v[76:79]// 000000006E80: D3E1004C 1532ED62
	v_exp_f32_e32 v51, v51                                     // 000000006E88: 7E664133
	v_mfma_f32_16x16x16_bf16 v[76:79], v[100:101], a[120:121], v[76:79]// 000000006E8C: D3E1004C 1532F164
	v_exp_f32_e32 v52, v52                                     // 000000006E94: 7E684134
	v_mfma_f32_16x16x16_bf16 v[76:79], v[102:103], a[122:123], v[76:79]// 000000006E98: D3E1004C 1532F566
	v_exp_f32_e32 v53, v53                                     // 000000006EA0: 7E6A4135
	v_mfma_f32_16x16x16_bf16 v[76:79], v[104:105], a[124:125], v[76:79]// 000000006EA4: D3E1004C 1532F968
	v_exp_f32_e32 v54, v54                                     // 000000006EAC: 7E6C4136
	v_mfma_f32_16x16x16_bf16 v[76:79], v[106:107], a[126:127], v[76:79]// 000000006EB0: D3E1004C 1532FD6A
	v_exp_f32_e32 v55, v55                                     // 000000006EB8: 7E6E4137
	v_mfma_f32_16x16x16_bf16 v[80:83], v[92:93], a[128:129], 0 // 000000006EBC: D3E10050 1203015C
	v_exp_f32_e32 v56, v56                                     // 000000006EC4: 7E704138
	v_mfma_f32_16x16x16_bf16 v[80:83], v[94:95], a[130:131], v[80:83]// 000000006EC8: D3E10050 1543055E
	v_exp_f32_e32 v57, v57                                     // 000000006ED0: 7E724139
	v_mfma_f32_16x16x16_bf16 v[80:83], v[96:97], a[132:133], v[80:83]// 000000006ED4: D3E10050 15430960
	v_exp_f32_e32 v58, v58                                     // 000000006EDC: 7E74413A
	v_mfma_f32_16x16x16_bf16 v[80:83], v[98:99], a[134:135], v[80:83]// 000000006EE0: D3E10050 15430D62
	v_exp_f32_e32 v59, v59                                     // 000000006EE8: 7E76413B
	v_mfma_f32_16x16x16_bf16 v[80:83], v[100:101], a[136:137], v[80:83]// 000000006EEC: D3E10050 15431164
	v_cmp_u_f32_e64 s[74:75], v48, v48                         // 000000006EF4: D048004A 00026130
	v_add3_u32 v248, v48, v251, 1                              // 000000006EFC: D1FF00F8 0207F730
	v_cndmask_b32_e64 v28, v248, v250, s[74:75]                // 000000006F04: D100001C 012BF5F8
	v_cmp_u_f32_e64 s[74:75], v49, v49                         // 000000006F0C: D048004A 00026331
	v_add3_u32 v248, v49, v251, 1                              // 000000006F14: D1FF00F8 0207F731
	v_cndmask_b32_e64 v29, v248, v250, s[74:75]                // 000000006F1C: D100001D 012BF5F8
	v_perm_b32 v144, v29, v28, s64                             // 000000006F24: D1ED0090 0102391D
	v_cmp_u_f32_e64 s[74:75], v50, v50                         // 000000006F2C: D048004A 00026532
	v_add3_u32 v248, v50, v251, 1                              // 000000006F34: D1FF00F8 0207F732
	v_cndmask_b32_e64 v28, v248, v250, s[74:75]                // 000000006F3C: D100001C 012BF5F8
	v_cmp_u_f32_e64 s[74:75], v51, v51                         // 000000006F44: D048004A 00026733
	v_add3_u32 v248, v51, v251, 1                              // 000000006F4C: D1FF00F8 0207F733
	v_cndmask_b32_e64 v29, v248, v250, s[74:75]                // 000000006F54: D100001D 012BF5F8
	v_perm_b32 v145, v29, v28, s64                             // 000000006F5C: D1ED0091 0102391D
	v_cmp_u_f32_e64 s[74:75], v52, v52                         // 000000006F64: D048004A 00026934
	v_add3_u32 v248, v52, v251, 1                              // 000000006F6C: D1FF00F8 0207F734
	v_cndmask_b32_e64 v28, v248, v250, s[74:75]                // 000000006F74: D100001C 012BF5F8
	v_cmp_u_f32_e64 s[74:75], v53, v53                         // 000000006F7C: D048004A 00026B35
	v_add3_u32 v248, v53, v251, 1                              // 000000006F84: D1FF00F8 0207F735
	v_cndmask_b32_e64 v29, v248, v250, s[74:75]                // 000000006F8C: D100001D 012BF5F8
	v_perm_b32 v146, v29, v28, s64                             // 000000006F94: D1ED0092 0102391D
	v_mfma_f32_16x16x16_bf16 v[80:83], v[102:103], a[138:139], v[80:83]// 000000006F9C: D3E10050 15431566
	v_cmp_u_f32_e64 s[74:75], v54, v54                         // 000000006FA4: D048004A 00026D36
	v_add3_u32 v248, v54, v251, 1                              // 000000006FAC: D1FF00F8 0207F736
	v_cndmask_b32_e64 v28, v248, v250, s[74:75]                // 000000006FB4: D100001C 012BF5F8
	v_cmp_u_f32_e64 s[74:75], v55, v55                         // 000000006FBC: D048004A 00026F37
	v_add3_u32 v248, v55, v251, 1                              // 000000006FC4: D1FF00F8 0207F737
	v_cndmask_b32_e64 v29, v248, v250, s[74:75]                // 000000006FCC: D100001D 012BF5F8
	v_perm_b32 v147, v29, v28, s64                             // 000000006FD4: D1ED0093 0102391D
	v_cmp_u_f32_e64 s[74:75], v56, v56                         // 000000006FDC: D048004A 00027138
	v_add3_u32 v248, v56, v251, 1                              // 000000006FE4: D1FF00F8 0207F738
	v_cndmask_b32_e64 v28, v248, v250, s[74:75]                // 000000006FEC: D100001C 012BF5F8
	v_cmp_u_f32_e64 s[74:75], v57, v57                         // 000000006FF4: D048004A 00027339
	v_add3_u32 v248, v57, v251, 1                              // 000000006FFC: D1FF00F8 0207F739
	v_cndmask_b32_e64 v29, v248, v250, s[74:75]                // 000000007004: D100001D 012BF5F8
	v_perm_b32 v148, v29, v28, s64                             // 00000000700C: D1ED0094 0102391D
	v_cmp_u_f32_e64 s[74:75], v58, v58                         // 000000007014: D048004A 0002753A
	v_add3_u32 v248, v58, v251, 1                              // 00000000701C: D1FF00F8 0207F73A
	v_cndmask_b32_e64 v28, v248, v250, s[74:75]                // 000000007024: D100001C 012BF5F8
	v_cmp_u_f32_e64 s[74:75], v59, v59                         // 00000000702C: D048004A 0002773B
	v_add3_u32 v248, v59, v251, 1                              // 000000007034: D1FF00F8 0207F73B
	v_cndmask_b32_e64 v29, v248, v250, s[74:75]                // 00000000703C: D100001D 012BF5F8
	v_perm_b32 v149, v29, v28, s64                             // 000000007044: D1ED0095 0102391D
	v_mfma_f32_16x16x16_bf16 v[80:83], v[104:105], a[140:141], v[80:83]// 00000000704C: D3E10050 15431968
	v_add_u32_e32 v7, s66, v7                                  // 000000007054: 680E0E42
	v_add_u32_e32 v8, s66, v8                                  // 000000007058: 68101042
	v_mfma_f32_16x16x16_bf16 v[80:83], v[106:107], a[142:143], v[80:83]// 00000000705C: D3E10050 15431D6A
	s_waitcnt lgkmcnt(0)                                       // 000000007064: BF8CC07F
	s_barrier                                                  // 000000007068: BF8A0000
	v_mfma_f32_16x16x16_bf16 v[152:155], v[108:109], v[144:145], v[152:155]// 00000000706C: D3E10098 0663216C
	v_subrev_f32_dpp v72, v150, v72 quad_perm:[0,0,0,0] row_mask:0xf bank_mask:0xf// 000000007074: 069090FA FF000096
	v_subrev_f32_dpp v73, v150, v73 quad_perm:[1,1,1,1] row_mask:0xf bank_mask:0xf// 00000000707C: 069292FA FF005596
	v_subrev_f32_dpp v74, v150, v74 quad_perm:[2,2,2,2] row_mask:0xf bank_mask:0xf// 000000007084: 069494FA FF00AA96
	v_mfma_f32_16x16x16_bf16 v[156:159], v[110:111], v[144:145], v[156:159]// 00000000708C: D3E1009C 0673216E
	v_subrev_f32_dpp v75, v150, v75 quad_perm:[3,3,3,3] row_mask:0xf bank_mask:0xf// 000000007094: 069696FA FF00FF96
	v_subrev_f32_dpp v76, v150, v76 quad_perm:[0,0,0,0] row_mask:0xf bank_mask:0xf// 00000000709C: 069898FA FF000096
	v_subrev_f32_dpp v77, v150, v77 quad_perm:[1,1,1,1] row_mask:0xf bank_mask:0xf// 0000000070A4: 069A9AFA FF005596
	v_mfma_f32_16x16x16_bf16 v[160:163], v[112:113], v[144:145], v[160:163]// 0000000070AC: D3E100A0 06832170
	v_mul_f32_e32 v72, v48, v72                                // 0000000070B4: 0A909130
	v_mul_f32_e32 v73, v49, v73                                // 0000000070B8: 0A929331
	v_mul_f32_e32 v74, v50, v74                                // 0000000070BC: 0A949532
	v_mfma_f32_16x16x16_bf16 v[164:167], v[114:115], v[144:145], v[164:167]// 0000000070C0: D3E100A4 06932172
	v_mul_f32_e32 v75, v51, v75                                // 0000000070C8: 0A969733
	v_mul_f32_e32 v76, v52, v76                                // 0000000070CC: 0A989934
	v_mul_f32_e32 v77, v53, v77                                // 0000000070D0: 0A9A9B35
	v_mfma_f32_16x16x16_bf16 v[168:171], v[116:117], v[144:145], v[168:171]// 0000000070D4: D3E100A8 06A32174
	v_cmp_u_f32_e64 s[74:75], v72, v72                         // 0000000070DC: D048004A 00029148
	v_add3_u32 v248, v72, v251, 1                              // 0000000070E4: D1FF00F8 0207F748
	v_cndmask_b32_e64 v28, v248, v250, s[74:75]                // 0000000070EC: D100001C 012BF5F8
	v_cmp_u_f32_e64 s[74:75], v73, v73                         // 0000000070F4: D048004A 00029349
	v_add3_u32 v248, v73, v251, 1                              // 0000000070FC: D1FF00F8 0207F749
	v_cndmask_b32_e64 v29, v248, v250, s[74:75]                // 000000007104: D100001D 012BF5F8
	v_perm_b32 v72, v29, v28, s64                              // 00000000710C: D1ED0048 0102391D
	v_cmp_u_f32_e64 s[74:75], v74, v74                         // 000000007114: D048004A 0002954A
	v_add3_u32 v248, v74, v251, 1                              // 00000000711C: D1FF00F8 0207F74A
	v_cndmask_b32_e64 v28, v248, v250, s[74:75]                // 000000007124: D100001C 012BF5F8
	v_cmp_u_f32_e64 s[74:75], v75, v75                         // 00000000712C: D048004A 0002974B
	v_add3_u32 v248, v75, v251, 1                              // 000000007134: D1FF00F8 0207F74B
	v_cndmask_b32_e64 v29, v248, v250, s[74:75]                // 00000000713C: D100001D 012BF5F8
	v_perm_b32 v73, v29, v28, s64                              // 000000007144: D1ED0049 0102391D
	v_cmp_u_f32_e64 s[74:75], v76, v76                         // 00000000714C: D048004A 0002994C
	v_add3_u32 v248, v76, v251, 1                              // 000000007154: D1FF00F8 0207F74C
	v_cndmask_b32_e64 v28, v248, v250, s[74:75]                // 00000000715C: D100001C 012BF5F8
	v_cmp_u_f32_e64 s[74:75], v77, v77                         // 000000007164: D048004A 00029B4D
	v_add3_u32 v248, v77, v251, 1                              // 00000000716C: D1FF00F8 0207F74D
	v_cndmask_b32_e64 v29, v248, v250, s[74:75]                // 000000007174: D100001D 012BF5F8
	v_perm_b32 v74, v29, v28, s64                              // 00000000717C: D1ED004A 0102391D
	v_mfma_f32_16x16x16_bf16 v[172:175], v[118:119], v[144:145], v[172:175]// 000000007184: D3E100AC 06B32176
	v_mov_b32_dpp v16, v72 quad_perm:[1,0,3,2] row_mask:0xf bank_mask:0xf// 00000000718C: 7E2002FA FF00B148
	v_perm_b32 v48, v16, v72, v15                              // 000000007194: D1ED0030 043E9110
	v_mov_b32_dpp v16, v73 quad_perm:[1,0,3,2] row_mask:0xf bank_mask:0xf// 00000000719C: 7E2002FA FF00B149
	v_mfma_f32_16x16x16_bf16 v[176:179], v[120:121], v[144:145], v[176:179]// 0000000071A4: D3E100B0 06C32178
	v_perm_b32 v49, v16, v73, v15                              // 0000000071AC: D1ED0031 043E9310
	v_mov_b32_dpp v16, v74 quad_perm:[1,0,3,2] row_mask:0xf bank_mask:0xf// 0000000071B4: 7E2002FA FF00B14A
	v_perm_b32 v50, v16, v74, v15                              // 0000000071BC: D1ED0032 043E9510
	v_mfma_f32_16x16x16_bf16 v[180:183], v[122:123], v[144:145], v[180:183]// 0000000071C4: D3E100B4 06D3217A
	ds_write_b32 v18, v48 offset:17408                         // 0000000071CC: D81A4400 00003012
	v_mfma_f32_16x16x16_bf16 v[184:187], v[108:109], v[146:147], v[184:187]// 0000000071D4: D3E100B8 06E3256C
	v_subrev_f32_dpp v78, v150, v78 quad_perm:[2,2,2,2] row_mask:0xf bank_mask:0xf// 0000000071DC: 069C9CFA FF00AA96
	v_subrev_f32_dpp v79, v150, v79 quad_perm:[3,3,3,3] row_mask:0xf bank_mask:0xf// 0000000071E4: 069E9EFA FF00FF96
	v_subrev_f32_dpp v80, v150, v80 quad_perm:[0,0,0,0] row_mask:0xf bank_mask:0xf// 0000000071EC: 06A0A0FA FF000096
	v_mfma_f32_16x16x16_bf16 v[188:191], v[110:111], v[146:147], v[188:191]// 0000000071F4: D3E100BC 06F3256E
	ds_write_b32 v18, v49 offset:17952                         // 0000000071FC: D81A4620 00003112
	v_mfma_f32_16x16x16_bf16 v[192:195], v[112:113], v[146:147], v[192:195]// 000000007204: D3E100C0 07032570
	v_subrev_f32_dpp v81, v150, v81 quad_perm:[1,1,1,1] row_mask:0xf bank_mask:0xf// 00000000720C: 06A2A2FA FF005596
	v_subrev_f32_dpp v82, v150, v82 quad_perm:[2,2,2,2] row_mask:0xf bank_mask:0xf// 000000007214: 06A4A4FA FF00AA96
	v_subrev_f32_dpp v83, v150, v83 quad_perm:[3,3,3,3] row_mask:0xf bank_mask:0xf// 00000000721C: 06A6A6FA FF00FF96
	v_mfma_f32_16x16x16_bf16 v[196:199], v[114:115], v[146:147], v[196:199]// 000000007224: D3E100C4 07132572
	ds_write_b32 v18, v50 offset:19712                         // 00000000722C: D81A4D00 00003212
	v_mfma_f32_16x16x16_bf16 v[200:203], v[116:117], v[146:147], v[200:203]// 000000007234: D3E100C8 07232574
	v_mul_f32_e32 v78, v54, v78                                // 00000000723C: 0A9C9D36
	v_mul_f32_e32 v79, v55, v79                                // 000000007240: 0A9E9F37
	v_mul_f32_e32 v80, v56, v80                                // 000000007244: 0AA0A138
	v_mfma_f32_16x16x16_bf16 v[204:207], v[118:119], v[146:147], v[204:207]// 000000007248: D3E100CC 07332576
	v_mul_f32_e32 v81, v57, v81                                // 000000007250: 0AA2A339
	v_mul_f32_e32 v82, v58, v82                                // 000000007254: 0AA4A53A
	v_mul_f32_e32 v83, v59, v83                                // 000000007258: 0AA6A73B
	v_mfma_f32_16x16x16_bf16 v[208:211], v[120:121], v[146:147], v[208:211]// 00000000725C: D3E100D0 07432578
	v_cmp_u_f32_e64 s[74:75], v78, v78                         // 000000007264: D048004A 00029D4E
	v_add3_u32 v248, v78, v251, 1                              // 00000000726C: D1FF00F8 0207F74E
	v_cndmask_b32_e64 v28, v248, v250, s[74:75]                // 000000007274: D100001C 012BF5F8
	v_cmp_u_f32_e64 s[74:75], v79, v79                         // 00000000727C: D048004A 00029F4F
	v_add3_u32 v248, v79, v251, 1                              // 000000007284: D1FF00F8 0207F74F
	v_cndmask_b32_e64 v29, v248, v250, s[74:75]                // 00000000728C: D100001D 012BF5F8
	v_perm_b32 v75, v29, v28, s64                              // 000000007294: D1ED004B 0102391D
	v_cmp_u_f32_e64 s[74:75], v80, v80                         // 00000000729C: D048004A 0002A150
	v_add3_u32 v248, v80, v251, 1                              // 0000000072A4: D1FF00F8 0207F750
	v_cndmask_b32_e64 v28, v248, v250, s[74:75]                // 0000000072AC: D100001C 012BF5F8
	v_cmp_u_f32_e64 s[74:75], v81, v81                         // 0000000072B4: D048004A 0002A351
	v_add3_u32 v248, v81, v251, 1                              // 0000000072BC: D1FF00F8 0207F751
	v_cndmask_b32_e64 v29, v248, v250, s[74:75]                // 0000000072C4: D100001D 012BF5F8
	v_perm_b32 v76, v29, v28, s64                              // 0000000072CC: D1ED004C 0102391D
	v_cmp_u_f32_e64 s[74:75], v82, v82                         // 0000000072D4: D048004A 0002A552
	v_add3_u32 v248, v82, v251, 1                              // 0000000072DC: D1FF00F8 0207F752
	v_cndmask_b32_e64 v28, v248, v250, s[74:75]                // 0000000072E4: D100001C 012BF5F8
	v_cmp_u_f32_e64 s[74:75], v83, v83                         // 0000000072EC: D048004A 0002A753
	v_add3_u32 v248, v83, v251, 1                              // 0000000072F4: D1FF00F8 0207F753
	v_cndmask_b32_e64 v29, v248, v250, s[74:75]                // 0000000072FC: D100001D 012BF5F8
	v_perm_b32 v77, v29, v28, s64                              // 000000007304: D1ED004D 0102391D
	v_mfma_f32_16x16x16_bf16 v[212:215], v[122:123], v[146:147], v[212:215]// 00000000730C: D3E100D4 0753257A
	v_mov_b32_dpp v16, v75 quad_perm:[1,0,3,2] row_mask:0xf bank_mask:0xf// 000000007314: 7E2002FA FF00B14B
	v_perm_b32 v51, v16, v75, v15                              // 00000000731C: D1ED0033 043E9710
	v_mov_b32_dpp v16, v76 quad_perm:[1,0,3,2] row_mask:0xf bank_mask:0xf// 000000007324: 7E2002FA FF00B14C
	v_mfma_f32_16x16x16_bf16 v[216:219], v[108:109], v[148:149], v[216:219]// 00000000732C: D3E100D8 0763296C
	v_perm_b32 v52, v16, v76, v15                              // 000000007334: D1ED0034 043E9910
	v_mov_b32_dpp v16, v77 quad_perm:[1,0,3,2] row_mask:0xf bank_mask:0xf// 00000000733C: 7E2002FA FF00B14D
	v_perm_b32 v53, v16, v77, v15                              // 000000007344: D1ED0035 043E9B10
	v_mfma_f32_16x16x16_bf16 v[220:223], v[110:111], v[148:149], v[220:223]// 00000000734C: D3E100DC 0773296E
	ds_write_b32 v18, v51 offset:20256                         // 000000007354: D81A4F20 00003312
	v_mfma_f32_16x16x16_bf16 v[224:227], v[112:113], v[148:149], v[224:227]// 00000000735C: D3E100E0 07832970
	v_mfma_f32_16x16x16_bf16 v[228:231], v[114:115], v[148:149], v[228:231]// 000000007364: D3E100E4 07932972
	ds_write_b32 v18, v52 offset:22016                         // 00000000736C: D81A5600 00003412
	ds_write_b32 v18, v53 offset:22560                         // 000000007374: D81A5820 00003512
	v_mfma_f32_16x16x16_bf16 v[232:235], v[116:117], v[148:149], v[232:235]// 00000000737C: D3E100E8 07A32974
	v_mfma_f32_16x16x16_bf16 v[236:239], v[118:119], v[148:149], v[236:239]// 000000007384: D3E100EC 07B32976
	ds_write_b32 v13, v84 offset:4352                          // 00000000738C: D81A1100 0000540D
	ds_write_b32 v13, v85 offset:5408                          // 000000007394: D81A1520 0000550D
	v_mfma_f32_16x16x16_bf16 v[240:243], v[120:121], v[148:149], v[240:243]// 00000000739C: D3E100F0 07C32978
	s_nop 0                                                    // 0000000073A4: BF800000
	s_nop 0                                                    // 0000000073A8: BF800000
	s_nop 0                                                    // 0000000073AC: BF800000
	v_mfma_f32_16x16x16_bf16 v[244:247], v[122:123], v[148:149], v[244:247]// 0000000073B0: D3E100F4 07D3297A
	ds_write_b32 v13, v86 offset:4480                          // 0000000073B8: D81A1180 0000560D
	ds_write_b32 v13, v87 offset:5536                          // 0000000073C0: D81A15A0 0000570D
	s_barrier                                                  // 0000000073C8: BF8A0000
	v_mfma_f32_16x16x16_bf16 a[160:163], a[144:145], v[72:73], a[160:163]// 0000000073CC: D3E180A0 0E829190
	buffer_atomic_add_f32 v136, v7, s[32:35], 0 offen          // 0000000073D4: E1341000 80088807
	v_mfma_f32_16x16x16_bf16 a[164:167], a[146:147], v[72:73], a[164:167]// 0000000073DC: D3E180A4 0E929192
	ds_read_b32 v124, v21 offset:51200                         // 0000000073E4: D86CC800 7C000015
	ds_read_b32 v150, v21 offset:51456                         // 0000000073EC: D86CC900 96000015
	v_mfma_f32_16x16x16_bf16 a[168:171], a[148:149], v[72:73], a[168:171]// 0000000073F4: D3E180A8 0EA29194
	s_waitcnt lgkmcnt(6)                                       // 0000000073FC: BF8CC67F
	s_barrier                                                  // 000000007400: BF8A0000
	v_mfma_f32_16x16x16_bf16 a[172:175], a[150:151], v[72:73], a[172:175]// 000000007404: D3E180AC 0EB29196
	ds_read_b128 v[48:51], v17 offset:17408                    // 00000000740C: D9FE4400 30000011
	v_mfma_f32_16x16x16_bf16 a[176:179], a[152:153], v[72:73], a[176:179]// 000000007414: D3E180B0 0EC29198
	v_mfma_f32_16x16x16_bf16 a[180:183], a[154:155], v[72:73], a[180:183]// 00000000741C: D3E180B4 0ED2919A
	ds_read_b128 v[52:55], v17 offset:18560                    // 000000007424: D9FE4880 34000011
	v_mfma_f32_16x16x16_bf16 a[184:187], a[156:157], v[72:73], a[184:187]// 00000000742C: D3E180B8 0EE2919C
	buffer_atomic_add_f32 v137, v8, s[32:35], 0 offen          // 000000007434: E1341000 80088908
	v_mfma_f32_16x16x16_bf16 a[188:191], a[158:159], v[72:73], a[188:191]// 00000000743C: D3E180BC 0EF2919E
	ds_read_b128 v[56:59], v17 offset:19712                    // 000000007444: D9FE4D00 38000011
	v_mfma_f32_16x16x16_bf16 a[192:195], a[144:145], v[74:75], a[192:195]// 00000000744C: D3E180C0 0F029590
	v_mfma_f32_16x16x16_bf16 a[196:199], a[146:147], v[74:75], a[196:199]// 000000007454: D3E180C4 0F129592
	ds_read_b128 v[60:63], v17 offset:20864                    // 00000000745C: D9FE5180 3C000011
	v_mfma_f32_16x16x16_bf16 a[200:203], a[148:149], v[74:75], a[200:203]// 000000007464: D3E180C8 0F229594
	v_mfma_f32_16x16x16_bf16 a[204:207], a[150:151], v[74:75], a[204:207]// 00000000746C: D3E180CC 0F329596
	ds_read_b128 v[64:67], v17 offset:22016                    // 000000007474: D9FE5600 40000011
	v_mfma_f32_16x16x16_bf16 a[208:211], a[152:153], v[74:75], a[208:211]// 00000000747C: D3E180D0 0F429598
	buffer_atomic_add_f32 v138, v7, s[32:35], 0 offen offset:128// 000000007484: E1341080 80088A07
	v_mfma_f32_16x16x16_bf16 a[212:215], a[154:155], v[74:75], a[212:215]// 00000000748C: D3E180D4 0F52959A
	ds_read_b128 v[68:71], v17 offset:23168                    // 000000007494: D9FE5A80 44000011
	v_mfma_f32_16x16x16_bf16 a[216:219], a[156:157], v[74:75], a[216:219]// 00000000749C: D3E180D8 0F62959C
	v_mfma_f32_16x16x16_bf16 a[220:223], a[158:159], v[74:75], a[220:223]// 0000000074A4: D3E180DC 0F72959E
	ds_write_b32 v13, v88 offset:13056                         // 0000000074AC: D81A3300 0000580D
	v_mfma_f32_16x16x16_bf16 a[224:227], a[144:145], v[76:77], a[224:227]// 0000000074B4: D3E180E0 0F829990
	v_mfma_f32_16x16x16_bf16 a[228:231], a[146:147], v[76:77], a[228:231]// 0000000074BC: D3E180E4 0F929992
	ds_write_b32 v13, v89 offset:14112                         // 0000000074C4: D81A3720 0000590D
	v_mfma_f32_16x16x16_bf16 a[232:235], a[148:149], v[76:77], a[232:235]// 0000000074CC: D3E180E8 0FA29994
	buffer_atomic_add_f32 v139, v8, s[32:35], 0 offen offset:128// 0000000074D4: E1341080 80088B08
	v_mfma_f32_16x16x16_bf16 a[236:239], a[150:151], v[76:77], a[236:239]// 0000000074DC: D3E180EC 0FB29996
	ds_write_b32 v13, v90 offset:13184                         // 0000000074E4: D81A3380 00005A0D
	v_mfma_f32_16x16x16_bf16 a[240:243], a[152:153], v[76:77], a[240:243]// 0000000074EC: D3E180F0 0FC29998
	v_mfma_f32_16x16x16_bf16 a[244:247], a[154:155], v[76:77], a[244:247]// 0000000074F4: D3E180F4 0FD2999A
	ds_write_b32 v13, v91 offset:14240                         // 0000000074FC: D81A37A0 00005B0D
	v_mfma_f32_16x16x16_bf16 a[248:251], a[156:157], v[76:77], a[248:251]// 000000007504: D3E180F8 0FE2999C
	v_mfma_f32_16x16x16_bf16 a[252:255], a[158:159], v[76:77], a[252:255]// 00000000750C: D3E180FC 0FF2999E
	s_waitcnt vmcnt(8) lgkmcnt(4)                              // 000000007514: BF8C0478
	s_barrier                                                  // 000000007518: BF8A0000
	v_mfma_f32_16x16x16_bf16 v[128:131], v[48:49], a[48:49], 0 // 00000000751C: D3E10080 12026130
	v_cmp_eq_u32_e32 vcc, v124, v151                           // 000000007524: 7D952F7C
	v_mov_b32_e32 v28, 0                                       // 000000007528: 7E380280
	v_cndmask_b32_e32 v124, v124, v28, vcc                     // 00000000752C: 00F8397C
	v_mul_f32_e32 v124, s48, v124                              // 000000007530: 0AF8F830
	s_nop 0                                                    // 000000007534: BF800000
	v_mfma_f32_16x16x16_bf16 v[128:131], v[50:51], a[52:53], v[128:131]// 000000007538: D3E10080 16026932
	ds_read_b128 a[144:147], v10                               // 000000007540: DBFE0000 9000000A
	v_mov_b32_e32 v36, 0                                       // 000000007548: 7E480280
	s_mov_b64 exec, s[88:89]                                   // 00000000754C: BEFE0158
	buffer_load_dword v36, v1, s[8:11], 0 idxen                // 000000007550: E0502000 80022401
	s_mov_b64 exec, s[86:87]                                   // 000000007558: BEFE0156
	v_mfma_f32_16x16x16_bf16 v[128:131], v[52:53], a[56:57], v[128:131]// 00000000755C: D3E10080 16027134
	v_mfma_f32_16x16x16_bf16 v[128:131], v[54:55], a[60:61], v[128:131]// 000000007564: D3E10080 16027936
	ds_read_b128 a[148:151], v10 offset:512                    // 00000000756C: DBFE0200 9400000A
	v_mov_b32_e32 v37, 0                                       // 000000007574: 7E4A0280
	s_mov_b64 exec, s[88:89]                                   // 000000007578: BEFE0158
	buffer_load_dword v37, v2, s[8:11], 0 idxen                // 00000000757C: E0502000 80022502
	s_mov_b64 exec, s[86:87]                                   // 000000007584: BEFE0156
	v_mfma_f32_16x16x16_bf16 v[128:131], v[56:57], a[64:65], v[128:131]// 000000007588: D3E10080 16028138
	v_perm_b32 v84, v33, v32, s63                              // 000000007590: D1ED0054 00FE4121
	v_perm_b32 v85, v33, v32, s64                              // 000000007598: D1ED0055 01024121
	v_mfma_f32_16x16x16_bf16 v[128:131], v[58:59], a[68:69], v[128:131]// 0000000075A0: D3E10080 1602893A
	ds_read_b128 a[152:155], v10 offset:2176                   // 0000000075A8: DBFE0880 9800000A
	v_mov_b32_e32 v38, 0                                       // 0000000075B0: 7E4C0280
	s_mov_b64 exec, s[88:89]                                   // 0000000075B4: BEFE0158
	buffer_load_dword v38, v3, s[8:11], 0 idxen                // 0000000075B8: E0502000 80022603
	s_mov_b64 exec, s[86:87]                                   // 0000000075C0: BEFE0156
	v_mfma_f32_16x16x16_bf16 v[128:131], v[60:61], a[72:73], v[128:131]// 0000000075C4: D3E10080 1602913C
	v_perm_b32 v86, v35, v34, s63                              // 0000000075CC: D1ED0056 00FE4523
	v_perm_b32 v87, v35, v34, s64                              // 0000000075D4: D1ED0057 01024523
	v_mfma_f32_16x16x16_bf16 v[128:131], v[62:63], a[76:77], v[128:131]// 0000000075DC: D3E10080 1602993E
	ds_read_b128 a[156:159], v10 offset:2688                   // 0000000075E4: DBFE0A80 9C00000A
	v_mov_b32_e32 v39, 0                                       // 0000000075EC: 7E4E0280
	s_mov_b64 exec, s[88:89]                                   // 0000000075F0: BEFE0158
	buffer_load_dword v39, v4, s[8:11], 0 idxen                // 0000000075F4: E0502000 80022704
	s_mov_b64 exec, s[86:87]                                   // 0000000075FC: BEFE0156
	v_mfma_f32_16x16x16_bf16 v[128:131], v[64:65], a[80:81], v[128:131]// 000000007600: D3E10080 1602A140
	v_perm_b32 v88, v41, v40, s63                              // 000000007608: D1ED0058 00FE5129
	v_perm_b32 v89, v41, v40, s64                              // 000000007610: D1ED0059 01025129
	v_mfma_f32_16x16x16_bf16 v[128:131], v[66:67], a[84:85], v[128:131]// 000000007618: D3E10080 1602A942
	ds_read_b128 v[92:95], v10 offset:8704                     // 000000007620: D9FE2200 5C00000A
	v_mov_b32_e32 v44, 0                                       // 000000007628: 7E580280
	s_mov_b64 exec, s[88:89]                                   // 00000000762C: BEFE0158
	buffer_load_dword v44, v252, s[20:23], 0 idxen             // 000000007630: E0502000 80052CFC
	s_mov_b64 exec, s[86:87]                                   // 000000007638: BEFE0156
	v_mfma_f32_16x16x16_bf16 v[128:131], v[68:69], a[88:89], v[128:131]// 00000000763C: D3E10080 1602B144
	v_perm_b32 v90, v43, v42, s63                              // 000000007644: D1ED005A 00FE552B
	v_perm_b32 v91, v43, v42, s64                              // 00000000764C: D1ED005B 0102552B
	v_mfma_f32_16x16x16_bf16 v[128:131], v[70:71], a[92:93], v[128:131]// 000000007654: D3E10080 1602B946
	ds_read_b128 v[96:99], v10 offset:9216                     // 00000000765C: D9FE2400 6000000A
	v_mov_b32_e32 v45, 0                                       // 000000007664: 7E5A0280
	s_mov_b64 exec, s[88:89]                                   // 000000007668: BEFE0158
	buffer_load_dword v45, v253, s[20:23], 0 idxen             // 00000000766C: E0502000 80052DFD
	s_mov_b64 exec, s[86:87]                                   // 000000007674: BEFE0156
	v_mfma_f32_16x16x16_bf16 v[132:135], v[48:49], a[50:51], 0 // 000000007678: D3E10084 12026530
	v_mov_b32_dpp v127, v124 quad_perm:[3,3,3,3] row_mask:0xf bank_mask:0xf// 000000007680: 7EFE02FA FF00FF7C
	v_mov_b32_dpp v126, v124 quad_perm:[2,2,2,2] row_mask:0xf bank_mask:0xf// 000000007688: 7EFC02FA FF00AA7C
	v_mfma_f32_16x16x16_bf16 v[132:135], v[50:51], a[54:55], v[132:135]// 000000007690: D3E10084 16126D32
	ds_read_b128 v[100:103], v10 offset:10880                  // 000000007698: D9FE2A80 6400000A
	v_mov_b32_e32 v46, 0                                       // 0000000076A0: 7E5C0280
	s_mov_b64 exec, s[88:89]                                   // 0000000076A4: BEFE0158
	buffer_load_dword v46, v254, s[20:23], 0 idxen             // 0000000076A8: E0502000 80052EFE
	s_mov_b64 exec, s[86:87]                                   // 0000000076B0: BEFE0156
	v_mfma_f32_16x16x16_bf16 v[132:135], v[52:53], a[58:59], v[132:135]// 0000000076B4: D3E10084 16127534
	v_mov_b32_dpp v125, v124 quad_perm:[1,1,1,1] row_mask:0xf bank_mask:0xf// 0000000076BC: 7EFA02FA FF00557C
	v_mov_b32_dpp v124, v124 quad_perm:[0,0,0,0] row_mask:0xf bank_mask:0xf// 0000000076C4: 7EF802FA FF00007C
	s_add_u32 s60, 64, s59                                     // 0000000076CC: 803C3BC0
	v_mfma_f32_16x16x16_bf16 v[132:135], v[54:55], a[62:63], v[132:135]// 0000000076D0: D3E10084 16127D36
	ds_read_b128 v[104:107], v10 offset:11392                  // 0000000076D8: D9FE2C80 6800000A
	v_mov_b32_e32 v47, 0                                       // 0000000076E0: 7E5E0280
	s_mov_b64 exec, s[88:89]                                   // 0000000076E4: BEFE0158
	buffer_load_dword v47, v255, s[20:23], 0 idxen             // 0000000076E8: E0502000 80052FFF
	s_mov_b64 exec, s[86:87]                                   // 0000000076F0: BEFE0156
	v_mfma_f32_16x16x16_bf16 v[132:135], v[56:57], a[66:67], v[132:135]// 0000000076F4: D3E10084 16128538
	s_cmp_lt_u32 s60, s58                                      // 0000000076FC: BF0A3A3C
	s_cselect_b32 s68, s68, 0                                  // 000000007700: 85448044
	s_cselect_b32 s97, s97, 0                                  // 000000007704: 85618061
	;; [unrolled: 1-line block ×3, first 2 shown]
	v_mfma_f32_16x16x16_bf16 v[132:135], v[58:59], a[70:71], v[132:135]// 00000000770C: D3E10084 16128D3A
	buffer_load_dword v9, s[24:27], 0 idxen lds                // 000000007714: E0512000 80060009
	v_mfma_f32_16x16x16_bf16 v[132:135], v[60:61], a[74:75], v[132:135]// 00000000771C: D3E10084 1612953C
	v_add_u32_e32 v1, s68, v1                                  // 000000007724: 68020244
	v_add_u32_e32 v2, s68, v2                                  // 000000007728: 68040444
	v_add_u32_e32 v3, s68, v3                                  // 00000000772C: 68060644
	v_add_u32_e32 v4, s68, v4                                  // 000000007730: 68080844
	v_mfma_f32_16x16x16_bf16 v[132:135], v[62:63], a[78:79], v[132:135]// 000000007734: D3E10084 16129D3E
	v_add_u32_e32 v252, s97, v252                              // 00000000773C: 69F9F861
	v_add_u32_e32 v253, s97, v253                              // 000000007740: 69FBFA61
	v_add_u32_e32 v254, s97, v254                              // 000000007744: 69FDFC61
	v_add_u32_e32 v255, s97, v255                              // 000000007748: 69FFFE61
	v_mfma_f32_16x16x16_bf16 v[132:135], v[64:65], a[82:83], v[132:135]// 00000000774C: D3E10084 1612A540
	s_mov_b32 m0, s76                                          // 000000007754: BEFC004C
	v_add_u32_e32 v9, s69, v9                                  // 000000007758: 68121245
	v_mfma_f32_16x16x16_bf16 v[132:135], v[66:67], a[86:87], v[132:135]// 00000000775C: D3E10084 1612AD42
	s_cmp_ge_u32 s59, s101                                     // 000000007764: BF09653B
	s_cselect_b32 s66, s67, s66                                // 000000007768: 85424243
	v_mfma_f32_16x16x16_bf16 v[132:135], v[68:69], a[90:91], v[132:135]// 00000000776C: D3E10084 1612B544
	s_addk_i32 s59, 0x10                                       // 000000007774: B73B0010
	s_nop 0                                                    // 000000007778: BF800000
	s_cmp_lt_i32 s59, s58                                      // 00000000777C: BF043A3B
	v_mfma_f32_16x16x16_bf16 v[132:135], v[70:71], a[94:95], v[132:135]// 000000007780: D3E10084 1612BD46
	s_cbranch_scc0 label_12E9                                  // 000000007788: BF84047A
	s_waitcnt lgkmcnt(0)                                       // 00000000778C: BF8CC07F
	s_barrier                                                  // 000000007790: BF8A0000
	v_mfma_f32_16x16x16_bf16 v[48:51], a[144:145], a[0:1], 0   // 000000007794: D3E10030 1A020190
	ds_write_b32 v11, v40 offset:8704                          // 00000000779C: D81A2200 0000280B
	ds_write_b32 v11, v41 offset:9760                          // 0000000077A4: D81A2620 0000290B
	v_mfma_f32_16x16x16_bf16 v[48:51], a[146:147], a[2:3], v[48:51]// 0000000077AC: D3E10030 1CC20592
	v_mul_f32_e32 v128, s47, v128                              // 0000000077B4: 0B01002F
	v_mul_f32_e32 v129, s47, v129                              // 0000000077B8: 0B03022F
	v_mfma_f32_16x16x16_bf16 v[48:51], a[148:149], a[4:5], v[48:51]// 0000000077BC: D3E10030 1CC20994
	ds_write_b32 v11, v42 offset:8832                          // 0000000077C4: D81A2280 00002A0B
	ds_write_b32 v11, v43 offset:9888                          // 0000000077CC: D81A26A0 00002B0B
	v_mfma_f32_16x16x16_bf16 v[48:51], a[150:151], a[6:7], v[48:51]// 0000000077D4: D3E10030 1CC20D96
	v_mul_f32_e32 v130, s47, v130                              // 0000000077DC: 0B05042F
	v_mul_f32_e32 v131, s47, v131                              // 0000000077E0: 0B07062F
	v_mfma_f32_16x16x16_bf16 v[48:51], a[152:153], a[8:9], v[48:51]// 0000000077E4: D3E10030 1CC21198
	ds_write_b64 v20, v[128:129] offset:24320                  // 0000000077EC: D89A5F00 00008014
	v_mfma_f32_16x16x16_bf16 v[48:51], a[154:155], a[10:11], v[48:51]// 0000000077F4: D3E10030 1CC2159A
	v_mul_f32_e32 v132, s47, v132                              // 0000000077FC: 0B09082F
	v_mul_f32_e32 v133, s47, v133                              // 000000007800: 0B0B0A2F
	v_mfma_f32_16x16x16_bf16 v[48:51], a[156:157], a[12:13], v[48:51]// 000000007804: D3E10030 1CC2199C
	ds_write_b64 v20, v[130:131] offset:24832                  // 00000000780C: D89A6100 00008214
	v_mfma_f32_16x16x16_bf16 v[48:51], a[158:159], a[14:15], v[48:51]// 000000007814: D3E10030 1CC21D9E
	v_mul_f32_e32 v134, s47, v134                              // 00000000781C: 0B0D0C2F
	v_mul_f32_e32 v135, s47, v135                              // 000000007820: 0B0F0E2F
	v_mfma_f32_16x16x16_bf16 v[52:55], a[144:145], a[16:17], 0 // 000000007824: D3E10034 1A022190
	ds_write_b64 v20, v[132:133] offset:25344                  // 00000000782C: D89A6300 00008414
	v_mfma_f32_16x16x16_bf16 v[52:55], a[146:147], a[18:19], v[52:55]// 000000007834: D3E10034 1CD22592
	buffer_atomic_add_f32 v140, v7, s[32:35], 0 offen offset:256// 00000000783C: E1341100 80088C07
	v_mfma_f32_16x16x16_bf16 v[52:55], a[148:149], a[20:21], v[52:55]// 000000007844: D3E10034 1CD22994
	ds_write_b64 v20, v[134:135] offset:25856                  // 00000000784C: D89A6500 00008614
	v_mfma_f32_16x16x16_bf16 v[52:55], a[150:151], a[22:23], v[52:55]// 000000007854: D3E10034 1CD22D96
	v_mfma_f32_16x16x16_bf16 v[52:55], a[152:153], a[24:25], v[52:55]// 00000000785C: D3E10034 1CD23198
	ds_read_b128 v[108:111], v12 offset:13056                  // 000000007864: D9FE3300 6C00000C
	ds_write_b32 v11, v32                                      // 00000000786C: D81A0000 0000200B
	v_mfma_f32_16x16x16_bf16 v[52:55], a[154:155], a[26:27], v[52:55]// 000000007874: D3E10034 1CD2359A
	buffer_atomic_add_f32 v141, v8, s[32:35], 0 offen offset:256// 00000000787C: E1341100 80088D08
	v_mfma_f32_16x16x16_bf16 v[52:55], a[156:157], a[28:29], v[52:55]// 000000007884: D3E10034 1CD2399C
	v_mfma_f32_16x16x16_bf16 v[52:55], a[158:159], a[30:31], v[52:55]// 00000000788C: D3E10034 1CD23D9E
	ds_read_b128 v[112:115], v12 offset:13568                  // 000000007894: D9FE3500 7000000C
	ds_write_b32 v11, v33 offset:1056                          // 00000000789C: D81A0420 0000210B
	v_mfma_f32_16x16x16_bf16 v[56:59], a[144:145], a[32:33], 0 // 0000000078A4: D3E10038 1A024190
	buffer_atomic_add_f32 v142, v7, s[32:35], 0 offen offset:384// 0000000078AC: E1341180 80088E07
	v_mfma_f32_16x16x16_bf16 v[56:59], a[146:147], a[34:35], v[56:59]// 0000000078B4: D3E10038 1CE24592
	v_mfma_f32_16x16x16_bf16 v[56:59], a[148:149], a[36:37], v[56:59]// 0000000078BC: D3E10038 1CE24994
	ds_read_b128 v[116:119], v12 offset:15232                  // 0000000078C4: D9FE3B80 7400000C
	ds_write_b32 v11, v34 offset:128                           // 0000000078CC: D81A0080 0000220B
	v_mfma_f32_16x16x16_bf16 v[56:59], a[150:151], a[38:39], v[56:59]// 0000000078D4: D3E10038 1CE24D96
	v_mfma_f32_16x16x16_bf16 v[56:59], a[152:153], a[40:41], v[56:59]// 0000000078DC: D3E10038 1CE25198
	buffer_atomic_add_f32 v143, v8, s[32:35], 0 offen offset:384// 0000000078E4: E1341180 80088F08
	v_mfma_f32_16x16x16_bf16 v[56:59], a[154:155], a[42:43], v[56:59]// 0000000078EC: D3E10038 1CE2559A
	ds_read_b128 v[120:123], v12 offset:15744                  // 0000000078F4: D9FE3D80 7800000C
	ds_write_b32 v11, v35 offset:1184                          // 0000000078FC: D81A04A0 0000230B
	v_mfma_f32_16x16x16_bf16 v[56:59], a[156:157], a[44:45], v[56:59]// 000000007904: D3E10038 1CE2599C
	v_mfma_f32_16x16x16_bf16 v[56:59], a[158:159], a[46:47], v[56:59]// 00000000790C: D3E10038 1CE25D9E
	s_add_i32 s82, s59, s99                                    // 000000007914: 8152633B
	s_sub_i32 s82, s82, 1                                      // 000000007918: 81D28152
	s_add_i32 s81, s59, 16                                     // 00000000791C: 8151903B
	s_sub_i32 s81, s81, s100                                   // 000000007920: 81D16451
	s_add_i32 s81, s81, 1                                      // 000000007924: 81518151
	s_branch label_0ED1                                        // 000000007928: BF820000

000000000000792c <label_0ED1>:
	s_add_i32 s62, 0, s46                                      // 00000000792C: 813E2E80
	s_mul_i32 s62, s62, 16                                     // 000000007930: 923E903E
	s_add_i32 s62, s80, s62                                    // 000000007934: 813E3E50
	s_add_i32 s61, s62, 16                                     // 000000007938: 813D903E
	s_add_i32 s61, s61, 16                                     // 00000000793C: 813D903D
	s_cmp_lt_i32 s61, s81                                      // 000000007940: BF04513D
	s_cselect_b32 s60, 1, 0                                    // 000000007944: 853C8081
	s_sub_i32 s62, s62, 16                                     // 000000007948: 81BE903E
	s_cmp_gt_i32 s62, s82                                      // 00000000794C: BF02523E
	s_cselect_b32 s61, 1, 0                                    // 000000007950: 853D8081
	s_or_b32 s60, s60, s61                                     // 000000007954: 873C3D3C
	s_cmp_eq_i32 s60, 1                                        // 000000007958: BF00813C
	s_cbranch_scc1 label_0F64                                  // 00000000795C: BF850085
	s_add_i32 s61, s62, 32                                     // 000000007960: 813DA03E
	s_add_i32 s62, s62, 16                                     // 000000007964: 813E903E
	s_cmp_lt_i32 s62, s81                                      // 000000007968: BF04513E
	s_cselect_b32 s60, 1, 0                                    // 00000000796C: 853C8081
	s_cmp_gt_i32 s61, s82                                      // 000000007970: BF02523D
	s_cselect_b32 s61, 1, 0                                    // 000000007974: 853D8081
	s_or_b32 s60, s60, s61                                     // 000000007978: 873C3D3C
	s_cmp_eq_i32 s60, 1                                        // 00000000797C: BF00813C
	s_cbranch_scc1 label_0F17                                  // 000000007980: BF85002F
	s_branch label_0EE8                                        // 000000007984: BF820000

0000000000007988 <label_0EE8>:
	s_add_i32 s62, 4, s46                                      // 000000007988: 813E2E84
	s_mul_i32 s62, s62, 16                                     // 00000000798C: 923E903E
	s_add_i32 s62, s80, s62                                    // 000000007990: 813E3E50
	s_add_i32 s61, s62, 16                                     // 000000007994: 813D903E
	s_add_i32 s61, s61, 16                                     // 000000007998: 813D903D
	s_cmp_lt_i32 s61, s81                                      // 00000000799C: BF04513D
	s_cselect_b32 s60, 1, 0                                    // 0000000079A0: 853C8081
	s_sub_i32 s62, s62, 16                                     // 0000000079A4: 81BE903E
	s_cmp_gt_i32 s62, s82                                      // 0000000079A8: BF02523E
	s_cselect_b32 s61, 1, 0                                    // 0000000079AC: 853D8081
	s_or_b32 s60, s60, s61                                     // 0000000079B0: 873C3D3C
	s_cmp_eq_i32 s60, 1                                        // 0000000079B4: BF00813C
	s_cbranch_scc1 label_0FB6                                  // 0000000079B8: BF8500C0
	s_add_i32 s61, s62, 32                                     // 0000000079BC: 813DA03E
	s_add_i32 s62, s62, 16                                     // 0000000079C0: 813E903E
	s_cmp_lt_i32 s62, s81                                      // 0000000079C4: BF04513E
	s_cselect_b32 s60, 1, 0                                    // 0000000079C8: 853C8081
	s_cmp_gt_i32 s61, s82                                      // 0000000079CC: BF02523D
	s_cselect_b32 s61, 1, 0                                    // 0000000079D0: 853D8081
	s_or_b32 s60, s60, s61                                     // 0000000079D4: 873C3D3C
	s_cmp_eq_i32 s60, 1                                        // 0000000079D8: BF00813C
	s_cbranch_scc1 label_0F69                                  // 0000000079DC: BF85006A
	s_branch label_0EFF                                        // 0000000079E0: BF820000

00000000000079e4 <label_0EFF>:
	s_add_i32 s62, 8, s46                                      // 0000000079E4: 813E2E88
	s_mul_i32 s62, s62, 16                                     // 0000000079E8: 923E903E
	s_add_i32 s62, s80, s62                                    // 0000000079EC: 813E3E50
	s_add_i32 s61, s62, 16                                     // 0000000079F0: 813D903E
	s_add_i32 s61, s61, 16                                     // 0000000079F4: 813D903D
	s_cmp_lt_i32 s61, s81                                      // 0000000079F8: BF04513D
	s_cselect_b32 s60, 1, 0                                    // 0000000079FC: 853C8081
	s_sub_i32 s62, s62, 16                                     // 000000007A00: 81BE903E
	s_cmp_gt_i32 s62, s82                                      // 000000007A04: BF02523E
	s_cselect_b32 s61, 1, 0                                    // 000000007A08: 853D8081
	s_or_b32 s60, s60, s61                                     // 000000007A0C: 873C3D3C
	s_cmp_eq_i32 s60, 1                                        // 000000007A10: BF00813C
	s_cbranch_scc1 label_1008                                  // 000000007A14: BF8500FB
	s_add_i32 s61, s62, 32                                     // 000000007A18: 813DA03E
	s_add_i32 s62, s62, 16                                     // 000000007A1C: 813E903E
	s_cmp_lt_i32 s62, s81                                      // 000000007A20: BF04513E
	s_cselect_b32 s60, 1, 0                                    // 000000007A24: 853C8081
	s_cmp_gt_i32 s61, s82                                      // 000000007A28: BF02523D
	s_cselect_b32 s61, 1, 0                                    // 000000007A2C: 853D8081
	s_or_b32 s60, s60, s61                                     // 000000007A30: 873C3D3C
	s_cmp_eq_i32 s60, 1                                        // 000000007A34: BF00813C
	s_cbranch_scc1 label_0FBB                                  // 000000007A38: BF8500A5
	s_branch label_100D                                        // 000000007A3C: BF8200F6

0000000000007a40 <label_0F17>:
	v_and_b32_e32 v28, 15, v0                                  // 000000007A40: 2638008F
	v_add_u32_e32 v28, s62, v28                                // 000000007A44: 6838383E
	v_lshrrev_b32_e32 v29, 4, v0                               // 000000007A48: 203A0084
	v_lshlrev_b32_e32 v29, 2, v29                              // 000000007A4C: 243A3A82
	v_add_i32 v29, 0, v29                                      // 000000007A50: D29C001D 00023A80
	v_add_i32 v29, s59, v29                                    // 000000007A58: D29C001D 00023A3B
	v_sub_i32 v29, v29, v28                                    // 000000007A60: D29D001D 0002391D
	v_cmp_ge_i32_e64 vcc, v29, s100                            // 000000007A68: D0C6006A 0000C91D
	v_sub_i32 v29, 0, v29                                      // 000000007A70: D29D001D 00023A80
	v_cndmask_b32_e32 v48, v48, v151, vcc                      // 000000007A78: 00612F30
	v_cmp_ge_i32_e64 vcc, v29, s99                             // 000000007A7C: D0C6006A 0000C71D
	s_nop 1                                                    // 000000007A84: BF800001
	v_cndmask_b32_e32 v48, v48, v151, vcc                      // 000000007A88: 00612F30
	v_and_b32_e32 v28, 15, v0                                  // 000000007A8C: 2638008F
	v_add_u32_e32 v28, s62, v28                                // 000000007A90: 6838383E
	v_lshrrev_b32_e32 v29, 4, v0                               // 000000007A94: 203A0084
	v_lshlrev_b32_e32 v29, 2, v29                              // 000000007A98: 243A3A82
	v_add_i32 v29, 1, v29                                      // 000000007A9C: D29C001D 00023A81
	v_add_i32 v29, s59, v29                                    // 000000007AA4: D29C001D 00023A3B
	v_sub_i32 v29, v29, v28                                    // 000000007AAC: D29D001D 0002391D
	v_cmp_ge_i32_e64 vcc, v29, s100                            // 000000007AB4: D0C6006A 0000C91D
	v_sub_i32 v29, 0, v29                                      // 000000007ABC: D29D001D 00023A80
	v_cndmask_b32_e32 v49, v49, v151, vcc                      // 000000007AC4: 00632F31
	v_cmp_ge_i32_e64 vcc, v29, s99                             // 000000007AC8: D0C6006A 0000C71D
	s_nop 1                                                    // 000000007AD0: BF800001
	v_cndmask_b32_e32 v49, v49, v151, vcc                      // 000000007AD4: 00632F31
	v_and_b32_e32 v28, 15, v0                                  // 000000007AD8: 2638008F
	v_add_u32_e32 v28, s62, v28                                // 000000007ADC: 6838383E
	v_lshrrev_b32_e32 v29, 4, v0                               // 000000007AE0: 203A0084
	v_lshlrev_b32_e32 v29, 2, v29                              // 000000007AE4: 243A3A82
	v_add_i32 v29, 2, v29                                      // 000000007AE8: D29C001D 00023A82
	v_add_i32 v29, s59, v29                                    // 000000007AF0: D29C001D 00023A3B
	v_sub_i32 v29, v29, v28                                    // 000000007AF8: D29D001D 0002391D
	v_cmp_ge_i32_e64 vcc, v29, s100                            // 000000007B00: D0C6006A 0000C91D
	v_sub_i32 v29, 0, v29                                      // 000000007B08: D29D001D 00023A80
	v_cndmask_b32_e32 v50, v50, v151, vcc                      // 000000007B10: 00652F32
	v_cmp_ge_i32_e64 vcc, v29, s99                             // 000000007B14: D0C6006A 0000C71D
	s_nop 1                                                    // 000000007B1C: BF800001
	v_cndmask_b32_e32 v50, v50, v151, vcc                      // 000000007B20: 00652F32
	v_and_b32_e32 v28, 15, v0                                  // 000000007B24: 2638008F
	v_add_u32_e32 v28, s62, v28                                // 000000007B28: 6838383E
	v_lshrrev_b32_e32 v29, 4, v0                               // 000000007B2C: 203A0084
	v_lshlrev_b32_e32 v29, 2, v29                              // 000000007B30: 243A3A82
	v_add_i32 v29, 3, v29                                      // 000000007B34: D29C001D 00023A83
	v_add_i32 v29, s59, v29                                    // 000000007B3C: D29C001D 00023A3B
	v_sub_i32 v29, v29, v28                                    // 000000007B44: D29D001D 0002391D
	v_cmp_ge_i32_e64 vcc, v29, s100                            // 000000007B4C: D0C6006A 0000C91D
	v_sub_i32 v29, 0, v29                                      // 000000007B54: D29D001D 00023A80
	v_cndmask_b32_e32 v51, v51, v151, vcc                      // 000000007B5C: 00672F33
	v_cmp_ge_i32_e64 vcc, v29, s99                             // 000000007B60: D0C6006A 0000C71D
	s_nop 1                                                    // 000000007B68: BF800001
	v_cndmask_b32_e32 v51, v51, v151, vcc                      // 000000007B6C: 00672F33
	s_branch label_0EE8                                        // 000000007B70: BF82FF85

0000000000007b74 <label_0F64>:
	v_mov_b32_e32 v48, v151                                    // 000000007B74: 7E600397
	v_mov_b32_e32 v49, v151                                    // 000000007B78: 7E620397
	v_mov_b32_e32 v50, v151                                    // 000000007B7C: 7E640397
	v_mov_b32_e32 v51, v151                                    // 000000007B80: 7E660397
	s_branch label_0EE8                                        // 000000007B84: BF82FF80

0000000000007b88 <label_0F69>:
	v_and_b32_e32 v28, 15, v0                                  // 000000007B88: 2638008F
	v_add_u32_e32 v28, s62, v28                                // 000000007B8C: 6838383E
	v_lshrrev_b32_e32 v29, 4, v0                               // 000000007B90: 203A0084
	v_lshlrev_b32_e32 v29, 2, v29                              // 000000007B94: 243A3A82
	v_add_i32 v29, 0, v29                                      // 000000007B98: D29C001D 00023A80
	v_add_i32 v29, s59, v29                                    // 000000007BA0: D29C001D 00023A3B
	v_sub_i32 v29, v29, v28                                    // 000000007BA8: D29D001D 0002391D
	v_cmp_ge_i32_e64 vcc, v29, s100                            // 000000007BB0: D0C6006A 0000C91D
	v_sub_i32 v29, 0, v29                                      // 000000007BB8: D29D001D 00023A80
	v_cndmask_b32_e32 v52, v52, v151, vcc                      // 000000007BC0: 00692F34
	v_cmp_ge_i32_e64 vcc, v29, s99                             // 000000007BC4: D0C6006A 0000C71D
	s_nop 1                                                    // 000000007BCC: BF800001
	v_cndmask_b32_e32 v52, v52, v151, vcc                      // 000000007BD0: 00692F34
	v_and_b32_e32 v28, 15, v0                                  // 000000007BD4: 2638008F
	v_add_u32_e32 v28, s62, v28                                // 000000007BD8: 6838383E
	v_lshrrev_b32_e32 v29, 4, v0                               // 000000007BDC: 203A0084
	v_lshlrev_b32_e32 v29, 2, v29                              // 000000007BE0: 243A3A82
	v_add_i32 v29, 1, v29                                      // 000000007BE4: D29C001D 00023A81
	v_add_i32 v29, s59, v29                                    // 000000007BEC: D29C001D 00023A3B
	v_sub_i32 v29, v29, v28                                    // 000000007BF4: D29D001D 0002391D
	v_cmp_ge_i32_e64 vcc, v29, s100                            // 000000007BFC: D0C6006A 0000C91D
	v_sub_i32 v29, 0, v29                                      // 000000007C04: D29D001D 00023A80
	v_cndmask_b32_e32 v53, v53, v151, vcc                      // 000000007C0C: 006B2F35
	v_cmp_ge_i32_e64 vcc, v29, s99                             // 000000007C10: D0C6006A 0000C71D
	s_nop 1                                                    // 000000007C18: BF800001
	v_cndmask_b32_e32 v53, v53, v151, vcc                      // 000000007C1C: 006B2F35
	v_and_b32_e32 v28, 15, v0                                  // 000000007C20: 2638008F
	v_add_u32_e32 v28, s62, v28                                // 000000007C24: 6838383E
	v_lshrrev_b32_e32 v29, 4, v0                               // 000000007C28: 203A0084
	v_lshlrev_b32_e32 v29, 2, v29                              // 000000007C2C: 243A3A82
	v_add_i32 v29, 2, v29                                      // 000000007C30: D29C001D 00023A82
	v_add_i32 v29, s59, v29                                    // 000000007C38: D29C001D 00023A3B
	v_sub_i32 v29, v29, v28                                    // 000000007C40: D29D001D 0002391D
	v_cmp_ge_i32_e64 vcc, v29, s100                            // 000000007C48: D0C6006A 0000C91D
	v_sub_i32 v29, 0, v29                                      // 000000007C50: D29D001D 00023A80
	v_cndmask_b32_e32 v54, v54, v151, vcc                      // 000000007C58: 006D2F36
	v_cmp_ge_i32_e64 vcc, v29, s99                             // 000000007C5C: D0C6006A 0000C71D
	s_nop 1                                                    // 000000007C64: BF800001
	v_cndmask_b32_e32 v54, v54, v151, vcc                      // 000000007C68: 006D2F36
	v_and_b32_e32 v28, 15, v0                                  // 000000007C6C: 2638008F
	v_add_u32_e32 v28, s62, v28                                // 000000007C70: 6838383E
	v_lshrrev_b32_e32 v29, 4, v0                               // 000000007C74: 203A0084
	v_lshlrev_b32_e32 v29, 2, v29                              // 000000007C78: 243A3A82
	v_add_i32 v29, 3, v29                                      // 000000007C7C: D29C001D 00023A83
	v_add_i32 v29, s59, v29                                    // 000000007C84: D29C001D 00023A3B
	v_sub_i32 v29, v29, v28                                    // 000000007C8C: D29D001D 0002391D
	v_cmp_ge_i32_e64 vcc, v29, s100                            // 000000007C94: D0C6006A 0000C91D
	v_sub_i32 v29, 0, v29                                      // 000000007C9C: D29D001D 00023A80
	v_cndmask_b32_e32 v55, v55, v151, vcc                      // 000000007CA4: 006F2F37
	v_cmp_ge_i32_e64 vcc, v29, s99                             // 000000007CA8: D0C6006A 0000C71D
	s_nop 1                                                    // 000000007CB0: BF800001
	v_cndmask_b32_e32 v55, v55, v151, vcc                      // 000000007CB4: 006F2F37
	s_branch label_0EFF                                        // 000000007CB8: BF82FF4A

0000000000007cbc <label_0FB6>:
	v_mov_b32_e32 v52, v151                                    // 000000007CBC: 7E680397
	v_mov_b32_e32 v53, v151                                    // 000000007CC0: 7E6A0397
	v_mov_b32_e32 v54, v151                                    // 000000007CC4: 7E6C0397
	v_mov_b32_e32 v55, v151                                    // 000000007CC8: 7E6E0397
	s_branch label_0EFF                                        // 000000007CCC: BF82FF45

0000000000007cd0 <label_0FBB>:
	v_and_b32_e32 v28, 15, v0                                  // 000000007CD0: 2638008F
	v_add_u32_e32 v28, s62, v28                                // 000000007CD4: 6838383E
	v_lshrrev_b32_e32 v29, 4, v0                               // 000000007CD8: 203A0084
	v_lshlrev_b32_e32 v29, 2, v29                              // 000000007CDC: 243A3A82
	v_add_i32 v29, 0, v29                                      // 000000007CE0: D29C001D 00023A80
	v_add_i32 v29, s59, v29                                    // 000000007CE8: D29C001D 00023A3B
	v_sub_i32 v29, v29, v28                                    // 000000007CF0: D29D001D 0002391D
	v_cmp_ge_i32_e64 vcc, v29, s100                            // 000000007CF8: D0C6006A 0000C91D
	v_sub_i32 v29, 0, v29                                      // 000000007D00: D29D001D 00023A80
	v_cndmask_b32_e32 v56, v56, v151, vcc                      // 000000007D08: 00712F38
	v_cmp_ge_i32_e64 vcc, v29, s99                             // 000000007D0C: D0C6006A 0000C71D
	s_nop 1                                                    // 000000007D14: BF800001
	v_cndmask_b32_e32 v56, v56, v151, vcc                      // 000000007D18: 00712F38
	v_and_b32_e32 v28, 15, v0                                  // 000000007D1C: 2638008F
	v_add_u32_e32 v28, s62, v28                                // 000000007D20: 6838383E
	v_lshrrev_b32_e32 v29, 4, v0                               // 000000007D24: 203A0084
	v_lshlrev_b32_e32 v29, 2, v29                              // 000000007D28: 243A3A82
	v_add_i32 v29, 1, v29                                      // 000000007D2C: D29C001D 00023A81
	v_add_i32 v29, s59, v29                                    // 000000007D34: D29C001D 00023A3B
	v_sub_i32 v29, v29, v28                                    // 000000007D3C: D29D001D 0002391D
	v_cmp_ge_i32_e64 vcc, v29, s100                            // 000000007D44: D0C6006A 0000C91D
	v_sub_i32 v29, 0, v29                                      // 000000007D4C: D29D001D 00023A80
	v_cndmask_b32_e32 v57, v57, v151, vcc                      // 000000007D54: 00732F39
	v_cmp_ge_i32_e64 vcc, v29, s99                             // 000000007D58: D0C6006A 0000C71D
	s_nop 1                                                    // 000000007D60: BF800001
	v_cndmask_b32_e32 v57, v57, v151, vcc                      // 000000007D64: 00732F39
	v_and_b32_e32 v28, 15, v0                                  // 000000007D68: 2638008F
	v_add_u32_e32 v28, s62, v28                                // 000000007D6C: 6838383E
	v_lshrrev_b32_e32 v29, 4, v0                               // 000000007D70: 203A0084
	v_lshlrev_b32_e32 v29, 2, v29                              // 000000007D74: 243A3A82
	v_add_i32 v29, 2, v29                                      // 000000007D78: D29C001D 00023A82
	v_add_i32 v29, s59, v29                                    // 000000007D80: D29C001D 00023A3B
	v_sub_i32 v29, v29, v28                                    // 000000007D88: D29D001D 0002391D
	v_cmp_ge_i32_e64 vcc, v29, s100                            // 000000007D90: D0C6006A 0000C91D
	v_sub_i32 v29, 0, v29                                      // 000000007D98: D29D001D 00023A80
	v_cndmask_b32_e32 v58, v58, v151, vcc                      // 000000007DA0: 00752F3A
	v_cmp_ge_i32_e64 vcc, v29, s99                             // 000000007DA4: D0C6006A 0000C71D
	s_nop 1                                                    // 000000007DAC: BF800001
	v_cndmask_b32_e32 v58, v58, v151, vcc                      // 000000007DB0: 00752F3A
	v_and_b32_e32 v28, 15, v0                                  // 000000007DB4: 2638008F
	v_add_u32_e32 v28, s62, v28                                // 000000007DB8: 6838383E
	v_lshrrev_b32_e32 v29, 4, v0                               // 000000007DBC: 203A0084
	v_lshlrev_b32_e32 v29, 2, v29                              // 000000007DC0: 243A3A82
	v_add_i32 v29, 3, v29                                      // 000000007DC4: D29C001D 00023A83
	v_add_i32 v29, s59, v29                                    // 000000007DCC: D29C001D 00023A3B
	v_sub_i32 v29, v29, v28                                    // 000000007DD4: D29D001D 0002391D
	v_cmp_ge_i32_e64 vcc, v29, s100                            // 000000007DDC: D0C6006A 0000C91D
	v_sub_i32 v29, 0, v29                                      // 000000007DE4: D29D001D 00023A80
	v_cndmask_b32_e32 v59, v59, v151, vcc                      // 000000007DEC: 00772F3B
	v_cmp_ge_i32_e64 vcc, v29, s99                             // 000000007DF0: D0C6006A 0000C71D
	s_nop 1                                                    // 000000007DF8: BF800001
	v_cndmask_b32_e32 v59, v59, v151, vcc                      // 000000007DFC: 00772F3B
	s_branch label_100D                                        // 000000007E00: BF820005

0000000000007e04 <label_1008>:
	v_mov_b32_e32 v56, v151                                    // 000000007E04: 7E700397
	v_mov_b32_e32 v57, v151                                    // 000000007E08: 7E720397
	v_mov_b32_e32 v58, v151                                    // 000000007E0C: 7E740397
	v_mov_b32_e32 v59, v151                                    // 000000007E10: 7E760397
	s_branch label_100D                                        // 000000007E14: BF820000

0000000000007e18 <label_100D>:
	s_cmp_lt_i32 s94, 0xc0                                     // 000000007E18: BF04FF5E 000000C0
	s_cbranch_scc0 label_1062                                  // 000000007E20: BF84004D
	s_cmp_le_i32 s94, 64                                       // 000000007E24: BF05C05E
	s_cbranch_scc1 label_1019                                  // 000000007E28: BF850007
	s_cmp_le_i32 s94, 0x80                                     // 000000007E2C: BF05FF5E 00000080
	s_cbranch_scc1 label_1031                                  // 000000007E34: BF850017
	s_cmp_lt_i32 s94, 0xc0                                     // 000000007E38: BF04FF5E 000000C0
	s_cbranch_scc1 label_1049                                  // 000000007E40: BF85002C
	s_branch label_1062                                        // 000000007E44: BF820044

0000000000007e48 <label_1019>:
	s_mov_b32 s60, 0                                           // 000000007E48: BEBC0080
	v_and_b32_e32 v28, 15, v0                                  // 000000007E4C: 2638008F
	v_add_u32_e64 v28, v28, s60                                // 000000007E50: D134001C 0000791C
	v_mul_i32_i24_e64 v29, s46, 16                             // 000000007E58: D106001D 0001202E
	v_add_u32_e32 v28, v28, v29                                // 000000007E60: 68383B1C
	v_cmp_lt_u32_e64 s[60:61], v28, s94                        // 000000007E64: D0C9003C 0000BD1C
	s_nop 1                                                    // 000000007E6C: BF800001
	v_cndmask_b32_e64 v48, v151, v48, s[60:61]                 // 000000007E70: D1000030 00F26197
	v_cndmask_b32_e64 v49, v151, v49, s[60:61]                 // 000000007E78: D1000031 00F26397
	v_cndmask_b32_e64 v50, v151, v50, s[60:61]                 // 000000007E80: D1000032 00F26597
	v_cndmask_b32_e64 v51, v151, v51, s[60:61]                 // 000000007E88: D1000033 00F26797
	s_branch label_1044                                        // 000000007E90: BF820013

0000000000007e94 <label_1031>:
	s_mov_b32 s60, 64                                          // 000000007E94: BEBC00C0
	v_and_b32_e32 v28, 15, v0                                  // 000000007E98: 2638008F
	v_add_u32_e64 v28, v28, s60                                // 000000007E9C: D134001C 0000791C
	v_mul_i32_i24_e64 v29, s46, 16                             // 000000007EA4: D106001D 0001202E
	v_add_u32_e32 v28, v28, v29                                // 000000007EAC: 68383B1C
	v_cmp_lt_u32_e64 s[60:61], v28, s94                        // 000000007EB0: D0C9003C 0000BD1C
	s_nop 1                                                    // 000000007EB8: BF800001
	v_cndmask_b32_e64 v52, v151, v52, s[60:61]                 // 000000007EBC: D1000034 00F26997
	v_cndmask_b32_e64 v53, v151, v53, s[60:61]                 // 000000007EC4: D1000035 00F26B97
	v_cndmask_b32_e64 v54, v151, v54, s[60:61]                 // 000000007ECC: D1000036 00F26D97
	v_cndmask_b32_e64 v55, v151, v55, s[60:61]                 // 000000007ED4: D1000037 00F26F97
	s_branch label_105D                                        // 000000007EDC: BF820019

0000000000007ee0 <label_1044>:
	v_mov_b32_e32 v52, v151                                    // 000000007EE0: 7E680397
	v_mov_b32_e32 v53, v151                                    // 000000007EE4: 7E6A0397
	v_mov_b32_e32 v54, v151                                    // 000000007EE8: 7E6C0397
	v_mov_b32_e32 v55, v151                                    // 000000007EEC: 7E6E0397
	s_branch label_105D                                        // 000000007EF0: BF820014

0000000000007ef4 <label_1049>:
	s_mov_b32 s60, 0x80                                        // 000000007EF4: BEBC00FF 00000080
	v_and_b32_e32 v28, 15, v0                                  // 000000007EFC: 2638008F
	v_add_u32_e64 v28, v28, s60                                // 000000007F00: D134001C 0000791C
	v_mul_i32_i24_e64 v29, s46, 16                             // 000000007F08: D106001D 0001202E
	v_add_u32_e32 v28, v28, v29                                // 000000007F10: 68383B1C
	v_cmp_lt_u32_e64 s[60:61], v28, s94                        // 000000007F14: D0C9003C 0000BD1C
	s_nop 1                                                    // 000000007F1C: BF800001
	v_cndmask_b32_e64 v56, v151, v56, s[60:61]                 // 000000007F20: D1000038 00F27197
	v_cndmask_b32_e64 v57, v151, v57, s[60:61]                 // 000000007F28: D1000039 00F27397
	v_cndmask_b32_e64 v58, v151, v58, s[60:61]                 // 000000007F30: D100003A 00F27597
	v_cndmask_b32_e64 v59, v151, v59, s[60:61]                 // 000000007F38: D100003B 00F27797
	s_branch label_1062                                        // 000000007F40: BF820005

0000000000007f44 <label_105D>:
	v_mov_b32_e32 v56, v151                                    // 000000007F44: 7E700397
	v_mov_b32_e32 v57, v151                                    // 000000007F48: 7E720397
	v_mov_b32_e32 v58, v151                                    // 000000007F4C: 7E740397
	v_mov_b32_e32 v59, v151                                    // 000000007F50: 7E760397
	s_branch label_1062                                        // 000000007F54: BF820000

0000000000007f58 <label_1062>:
	s_waitcnt lgkmcnt(8)                                       // 000000007F58: BF8CC87F
	s_barrier                                                  // 000000007F5C: BF8A0000
	v_mfma_f32_16x16x16_bf16 v[72:75], v[92:93], a[96:97], 0   // 000000007F60: D3E10048 1202C15C
	ds_read_b128 a[144:147], v12 offset:4352                   // 000000007F68: DBFE1100 9000000C
	ds_read_b128 a[148:151], v12 offset:4864                   // 000000007F70: DBFE1300 9400000C
	v_mfma_f32_16x16x16_bf16 v[72:75], v[94:95], a[98:99], v[72:75]// 000000007F78: D3E10048 1522C55E
	v_fma_f32 v48, v48, s57, -v124                             // 000000007F80: D1CB0030 85F07330
	v_fma_f32 v49, v49, s57, -v125                             // 000000007F88: D1CB0031 85F47331
	v_fma_f32 v50, v50, s57, -v126                             // 000000007F90: D1CB0032 85F87332
	v_mfma_f32_16x16x16_bf16 v[72:75], v[96:97], a[100:101], v[72:75]// 000000007F98: D3E10048 1522C960
	v_fma_f32 v51, v51, s57, -v127                             // 000000007FA0: D1CB0033 85FC7333
	v_fma_f32 v52, v52, s57, -v124                             // 000000007FA8: D1CB0034 85F07334
	v_fma_f32 v53, v53, s57, -v125                             // 000000007FB0: D1CB0035 85F47335
	v_mfma_f32_16x16x16_bf16 v[72:75], v[98:99], a[102:103], v[72:75]// 000000007FB8: D3E10048 1522CD62
	v_fma_f32 v54, v54, s57, -v126                             // 000000007FC0: D1CB0036 85F87336
	v_fma_f32 v55, v55, s57, -v127                             // 000000007FC8: D1CB0037 85FC7337
	v_fma_f32 v56, v56, s57, -v124                             // 000000007FD0: D1CB0038 85F07338
	v_mfma_f32_16x16x16_bf16 v[72:75], v[100:101], a[104:105], v[72:75]// 000000007FD8: D3E10048 1522D164
	ds_read_b128 a[152:155], v12 offset:6528                   // 000000007FE0: DBFE1980 9800000C
	ds_read_b128 a[156:159], v12 offset:7040                   // 000000007FE8: DBFE1B80 9C00000C
	v_mfma_f32_16x16x16_bf16 v[72:75], v[102:103], a[106:107], v[72:75]// 000000007FF0: D3E10048 1522D566
	v_fma_f32 v57, v57, s57, -v125                             // 000000007FF8: D1CB0039 85F47339
	v_fma_f32 v58, v58, s57, -v126                             // 000000008000: D1CB003A 85F8733A
	v_fma_f32 v59, v59, s57, -v127                             // 000000008008: D1CB003B 85FC733B
	v_mfma_f32_16x16x16_bf16 v[72:75], v[104:105], a[108:109], v[72:75]// 000000008010: D3E10048 1522D968
	v_exp_f32_e32 v48, v48                                     // 000000008018: 7E604130
	v_mfma_f32_16x16x16_bf16 v[72:75], v[106:107], a[110:111], v[72:75]// 00000000801C: D3E10048 1522DD6A
	v_exp_f32_e32 v49, v49                                     // 000000008024: 7E624131
	v_mfma_f32_16x16x16_bf16 v[76:79], v[92:93], a[112:113], 0 // 000000008028: D3E1004C 1202E15C
	ds_read_b64 v[136:137], v19 offset:24320                   // 000000008030: D8EC5F00 88000013
	ds_read_b64 v[138:139], v19 offset:26368                   // 000000008038: D8EC6700 8A000013
	v_mfma_f32_16x16x16_bf16 v[76:79], v[94:95], a[114:115], v[76:79]// 000000008040: D3E1004C 1532E55E
	v_exp_f32_e32 v50, v50                                     // 000000008048: 7E644132
	v_mfma_f32_16x16x16_bf16 v[76:79], v[96:97], a[116:117], v[76:79]// 00000000804C: D3E1004C 1532E960
	ds_read_b64 v[140:141], v19 offset:28416                   // 000000008054: D8EC6F00 8C000013
	ds_read_b64 v[142:143], v19 offset:30464                   // 00000000805C: D8EC7700 8E000013
	v_mfma_f32_16x16x16_bf16 v[76:79], v[98:99], a[118:119], v[76:79]// 000000008064: D3E1004C 1532ED62
	v_exp_f32_e32 v51, v51                                     // 00000000806C: 7E664133
	v_mfma_f32_16x16x16_bf16 v[76:79], v[100:101], a[120:121], v[76:79]// 000000008070: D3E1004C 1532F164
	v_exp_f32_e32 v52, v52                                     // 000000008078: 7E684134
	v_mfma_f32_16x16x16_bf16 v[76:79], v[102:103], a[122:123], v[76:79]// 00000000807C: D3E1004C 1532F566
	v_exp_f32_e32 v53, v53                                     // 000000008084: 7E6A4135
	v_mfma_f32_16x16x16_bf16 v[76:79], v[104:105], a[124:125], v[76:79]// 000000008088: D3E1004C 1532F968
	v_exp_f32_e32 v54, v54                                     // 000000008090: 7E6C4136
	v_mfma_f32_16x16x16_bf16 v[76:79], v[106:107], a[126:127], v[76:79]// 000000008094: D3E1004C 1532FD6A
	v_exp_f32_e32 v55, v55                                     // 00000000809C: 7E6E4137
	v_mfma_f32_16x16x16_bf16 v[80:83], v[92:93], a[128:129], 0 // 0000000080A0: D3E10050 1203015C
	v_exp_f32_e32 v56, v56                                     // 0000000080A8: 7E704138
	v_mfma_f32_16x16x16_bf16 v[80:83], v[94:95], a[130:131], v[80:83]// 0000000080AC: D3E10050 1543055E
	v_exp_f32_e32 v57, v57                                     // 0000000080B4: 7E724139
	v_mfma_f32_16x16x16_bf16 v[80:83], v[96:97], a[132:133], v[80:83]// 0000000080B8: D3E10050 15430960
	v_exp_f32_e32 v58, v58                                     // 0000000080C0: 7E74413A
	v_mfma_f32_16x16x16_bf16 v[80:83], v[98:99], a[134:135], v[80:83]// 0000000080C4: D3E10050 15430D62
	v_exp_f32_e32 v59, v59                                     // 0000000080CC: 7E76413B
	v_mfma_f32_16x16x16_bf16 v[80:83], v[100:101], a[136:137], v[80:83]// 0000000080D0: D3E10050 15431164
	v_cmp_u_f32_e64 s[74:75], v48, v48                         // 0000000080D8: D048004A 00026130
	v_add3_u32 v248, v48, v251, 1                              // 0000000080E0: D1FF00F8 0207F730
	v_cndmask_b32_e64 v28, v248, v250, s[74:75]                // 0000000080E8: D100001C 012BF5F8
	v_cmp_u_f32_e64 s[74:75], v49, v49                         // 0000000080F0: D048004A 00026331
	v_add3_u32 v248, v49, v251, 1                              // 0000000080F8: D1FF00F8 0207F731
	v_cndmask_b32_e64 v29, v248, v250, s[74:75]                // 000000008100: D100001D 012BF5F8
	v_perm_b32 v144, v29, v28, s64                             // 000000008108: D1ED0090 0102391D
	v_cmp_u_f32_e64 s[74:75], v50, v50                         // 000000008110: D048004A 00026532
	v_add3_u32 v248, v50, v251, 1                              // 000000008118: D1FF00F8 0207F732
	v_cndmask_b32_e64 v28, v248, v250, s[74:75]                // 000000008120: D100001C 012BF5F8
	v_cmp_u_f32_e64 s[74:75], v51, v51                         // 000000008128: D048004A 00026733
	v_add3_u32 v248, v51, v251, 1                              // 000000008130: D1FF00F8 0207F733
	v_cndmask_b32_e64 v29, v248, v250, s[74:75]                // 000000008138: D100001D 012BF5F8
	v_perm_b32 v145, v29, v28, s64                             // 000000008140: D1ED0091 0102391D
	v_cmp_u_f32_e64 s[74:75], v52, v52                         // 000000008148: D048004A 00026934
	v_add3_u32 v248, v52, v251, 1                              // 000000008150: D1FF00F8 0207F734
	v_cndmask_b32_e64 v28, v248, v250, s[74:75]                // 000000008158: D100001C 012BF5F8
	v_cmp_u_f32_e64 s[74:75], v53, v53                         // 000000008160: D048004A 00026B35
	v_add3_u32 v248, v53, v251, 1                              // 000000008168: D1FF00F8 0207F735
	v_cndmask_b32_e64 v29, v248, v250, s[74:75]                // 000000008170: D100001D 012BF5F8
	v_perm_b32 v146, v29, v28, s64                             // 000000008178: D1ED0092 0102391D
	v_mfma_f32_16x16x16_bf16 v[80:83], v[102:103], a[138:139], v[80:83]// 000000008180: D3E10050 15431566
	v_cmp_u_f32_e64 s[74:75], v54, v54                         // 000000008188: D048004A 00026D36
	v_add3_u32 v248, v54, v251, 1                              // 000000008190: D1FF00F8 0207F736
	v_cndmask_b32_e64 v28, v248, v250, s[74:75]                // 000000008198: D100001C 012BF5F8
	v_cmp_u_f32_e64 s[74:75], v55, v55                         // 0000000081A0: D048004A 00026F37
	v_add3_u32 v248, v55, v251, 1                              // 0000000081A8: D1FF00F8 0207F737
	v_cndmask_b32_e64 v29, v248, v250, s[74:75]                // 0000000081B0: D100001D 012BF5F8
	v_perm_b32 v147, v29, v28, s64                             // 0000000081B8: D1ED0093 0102391D
	v_cmp_u_f32_e64 s[74:75], v56, v56                         // 0000000081C0: D048004A 00027138
	v_add3_u32 v248, v56, v251, 1                              // 0000000081C8: D1FF00F8 0207F738
	v_cndmask_b32_e64 v28, v248, v250, s[74:75]                // 0000000081D0: D100001C 012BF5F8
	v_cmp_u_f32_e64 s[74:75], v57, v57                         // 0000000081D8: D048004A 00027339
	v_add3_u32 v248, v57, v251, 1                              // 0000000081E0: D1FF00F8 0207F739
	v_cndmask_b32_e64 v29, v248, v250, s[74:75]                // 0000000081E8: D100001D 012BF5F8
	v_perm_b32 v148, v29, v28, s64                             // 0000000081F0: D1ED0094 0102391D
	v_cmp_u_f32_e64 s[74:75], v58, v58                         // 0000000081F8: D048004A 0002753A
	v_add3_u32 v248, v58, v251, 1                              // 000000008200: D1FF00F8 0207F73A
	v_cndmask_b32_e64 v28, v248, v250, s[74:75]                // 000000008208: D100001C 012BF5F8
	v_cmp_u_f32_e64 s[74:75], v59, v59                         // 000000008210: D048004A 0002773B
	v_add3_u32 v248, v59, v251, 1                              // 000000008218: D1FF00F8 0207F73B
	v_cndmask_b32_e64 v29, v248, v250, s[74:75]                // 000000008220: D100001D 012BF5F8
	v_perm_b32 v149, v29, v28, s64                             // 000000008228: D1ED0095 0102391D
	v_mfma_f32_16x16x16_bf16 v[80:83], v[104:105], a[140:141], v[80:83]// 000000008230: D3E10050 15431968
	v_add_u32_e32 v7, s66, v7                                  // 000000008238: 680E0E42
	v_add_u32_e32 v8, s66, v8                                  // 00000000823C: 68101042
	v_mfma_f32_16x16x16_bf16 v[80:83], v[106:107], a[142:143], v[80:83]// 000000008240: D3E10050 15431D6A
	s_waitcnt lgkmcnt(0)                                       // 000000008248: BF8CC07F
	s_barrier                                                  // 00000000824C: BF8A0000
	v_mfma_f32_16x16x16_bf16 v[152:155], v[108:109], v[144:145], v[152:155]// 000000008250: D3E10098 0663216C
	v_subrev_f32_dpp v72, v150, v72 quad_perm:[0,0,0,0] row_mask:0xf bank_mask:0xf// 000000008258: 069090FA FF000096
	v_subrev_f32_dpp v73, v150, v73 quad_perm:[1,1,1,1] row_mask:0xf bank_mask:0xf// 000000008260: 069292FA FF005596
	v_subrev_f32_dpp v74, v150, v74 quad_perm:[2,2,2,2] row_mask:0xf bank_mask:0xf// 000000008268: 069494FA FF00AA96
	v_mfma_f32_16x16x16_bf16 v[156:159], v[110:111], v[144:145], v[156:159]// 000000008270: D3E1009C 0673216E
	v_subrev_f32_dpp v75, v150, v75 quad_perm:[3,3,3,3] row_mask:0xf bank_mask:0xf// 000000008278: 069696FA FF00FF96
	v_subrev_f32_dpp v76, v150, v76 quad_perm:[0,0,0,0] row_mask:0xf bank_mask:0xf// 000000008280: 069898FA FF000096
	v_subrev_f32_dpp v77, v150, v77 quad_perm:[1,1,1,1] row_mask:0xf bank_mask:0xf// 000000008288: 069A9AFA FF005596
	v_mfma_f32_16x16x16_bf16 v[160:163], v[112:113], v[144:145], v[160:163]// 000000008290: D3E100A0 06832170
	v_mul_f32_e32 v72, v48, v72                                // 000000008298: 0A909130
	v_mul_f32_e32 v73, v49, v73                                // 00000000829C: 0A929331
	v_mul_f32_e32 v74, v50, v74                                // 0000000082A0: 0A949532
	v_mfma_f32_16x16x16_bf16 v[164:167], v[114:115], v[144:145], v[164:167]// 0000000082A4: D3E100A4 06932172
	v_mul_f32_e32 v75, v51, v75                                // 0000000082AC: 0A969733
	v_mul_f32_e32 v76, v52, v76                                // 0000000082B0: 0A989934
	v_mul_f32_e32 v77, v53, v77                                // 0000000082B4: 0A9A9B35
	v_mfma_f32_16x16x16_bf16 v[168:171], v[116:117], v[144:145], v[168:171]// 0000000082B8: D3E100A8 06A32174
	v_cmp_u_f32_e64 s[74:75], v72, v72                         // 0000000082C0: D048004A 00029148
	v_add3_u32 v248, v72, v251, 1                              // 0000000082C8: D1FF00F8 0207F748
	v_cndmask_b32_e64 v28, v248, v250, s[74:75]                // 0000000082D0: D100001C 012BF5F8
	v_cmp_u_f32_e64 s[74:75], v73, v73                         // 0000000082D8: D048004A 00029349
	v_add3_u32 v248, v73, v251, 1                              // 0000000082E0: D1FF00F8 0207F749
	v_cndmask_b32_e64 v29, v248, v250, s[74:75]                // 0000000082E8: D100001D 012BF5F8
	v_perm_b32 v72, v29, v28, s64                              // 0000000082F0: D1ED0048 0102391D
	v_cmp_u_f32_e64 s[74:75], v74, v74                         // 0000000082F8: D048004A 0002954A
	v_add3_u32 v248, v74, v251, 1                              // 000000008300: D1FF00F8 0207F74A
	v_cndmask_b32_e64 v28, v248, v250, s[74:75]                // 000000008308: D100001C 012BF5F8
	v_cmp_u_f32_e64 s[74:75], v75, v75                         // 000000008310: D048004A 0002974B
	v_add3_u32 v248, v75, v251, 1                              // 000000008318: D1FF00F8 0207F74B
	v_cndmask_b32_e64 v29, v248, v250, s[74:75]                // 000000008320: D100001D 012BF5F8
	v_perm_b32 v73, v29, v28, s64                              // 000000008328: D1ED0049 0102391D
	v_cmp_u_f32_e64 s[74:75], v76, v76                         // 000000008330: D048004A 0002994C
	v_add3_u32 v248, v76, v251, 1                              // 000000008338: D1FF00F8 0207F74C
	v_cndmask_b32_e64 v28, v248, v250, s[74:75]                // 000000008340: D100001C 012BF5F8
	v_cmp_u_f32_e64 s[74:75], v77, v77                         // 000000008348: D048004A 00029B4D
	v_add3_u32 v248, v77, v251, 1                              // 000000008350: D1FF00F8 0207F74D
	v_cndmask_b32_e64 v29, v248, v250, s[74:75]                // 000000008358: D100001D 012BF5F8
	v_perm_b32 v74, v29, v28, s64                              // 000000008360: D1ED004A 0102391D
	v_mfma_f32_16x16x16_bf16 v[172:175], v[118:119], v[144:145], v[172:175]// 000000008368: D3E100AC 06B32176
	v_mov_b32_dpp v16, v72 quad_perm:[1,0,3,2] row_mask:0xf bank_mask:0xf// 000000008370: 7E2002FA FF00B148
	v_perm_b32 v48, v16, v72, v15                              // 000000008378: D1ED0030 043E9110
	v_mov_b32_dpp v16, v73 quad_perm:[1,0,3,2] row_mask:0xf bank_mask:0xf// 000000008380: 7E2002FA FF00B149
	v_mfma_f32_16x16x16_bf16 v[176:179], v[120:121], v[144:145], v[176:179]// 000000008388: D3E100B0 06C32178
	v_perm_b32 v49, v16, v73, v15                              // 000000008390: D1ED0031 043E9310
	v_mov_b32_dpp v16, v74 quad_perm:[1,0,3,2] row_mask:0xf bank_mask:0xf// 000000008398: 7E2002FA FF00B14A
	v_perm_b32 v50, v16, v74, v15                              // 0000000083A0: D1ED0032 043E9510
	v_mfma_f32_16x16x16_bf16 v[180:183], v[122:123], v[144:145], v[180:183]// 0000000083A8: D3E100B4 06D3217A
	ds_write_b32 v18, v48 offset:17408                         // 0000000083B0: D81A4400 00003012
	v_mfma_f32_16x16x16_bf16 v[184:187], v[108:109], v[146:147], v[184:187]// 0000000083B8: D3E100B8 06E3256C
	v_subrev_f32_dpp v78, v150, v78 quad_perm:[2,2,2,2] row_mask:0xf bank_mask:0xf// 0000000083C0: 069C9CFA FF00AA96
	v_subrev_f32_dpp v79, v150, v79 quad_perm:[3,3,3,3] row_mask:0xf bank_mask:0xf// 0000000083C8: 069E9EFA FF00FF96
	v_subrev_f32_dpp v80, v150, v80 quad_perm:[0,0,0,0] row_mask:0xf bank_mask:0xf// 0000000083D0: 06A0A0FA FF000096
	v_mfma_f32_16x16x16_bf16 v[188:191], v[110:111], v[146:147], v[188:191]// 0000000083D8: D3E100BC 06F3256E
	ds_write_b32 v18, v49 offset:17952                         // 0000000083E0: D81A4620 00003112
	v_mfma_f32_16x16x16_bf16 v[192:195], v[112:113], v[146:147], v[192:195]// 0000000083E8: D3E100C0 07032570
	v_subrev_f32_dpp v81, v150, v81 quad_perm:[1,1,1,1] row_mask:0xf bank_mask:0xf// 0000000083F0: 06A2A2FA FF005596
	v_subrev_f32_dpp v82, v150, v82 quad_perm:[2,2,2,2] row_mask:0xf bank_mask:0xf// 0000000083F8: 06A4A4FA FF00AA96
	v_subrev_f32_dpp v83, v150, v83 quad_perm:[3,3,3,3] row_mask:0xf bank_mask:0xf// 000000008400: 06A6A6FA FF00FF96
	v_mfma_f32_16x16x16_bf16 v[196:199], v[114:115], v[146:147], v[196:199]// 000000008408: D3E100C4 07132572
	ds_write_b32 v18, v50 offset:19712                         // 000000008410: D81A4D00 00003212
	v_mfma_f32_16x16x16_bf16 v[200:203], v[116:117], v[146:147], v[200:203]// 000000008418: D3E100C8 07232574
	v_mul_f32_e32 v78, v54, v78                                // 000000008420: 0A9C9D36
	v_mul_f32_e32 v79, v55, v79                                // 000000008424: 0A9E9F37
	v_mul_f32_e32 v80, v56, v80                                // 000000008428: 0AA0A138
	v_mfma_f32_16x16x16_bf16 v[204:207], v[118:119], v[146:147], v[204:207]// 00000000842C: D3E100CC 07332576
	v_mul_f32_e32 v81, v57, v81                                // 000000008434: 0AA2A339
	v_mul_f32_e32 v82, v58, v82                                // 000000008438: 0AA4A53A
	v_mul_f32_e32 v83, v59, v83                                // 00000000843C: 0AA6A73B
	v_mfma_f32_16x16x16_bf16 v[208:211], v[120:121], v[146:147], v[208:211]// 000000008440: D3E100D0 07432578
	v_cmp_u_f32_e64 s[74:75], v78, v78                         // 000000008448: D048004A 00029D4E
	v_add3_u32 v248, v78, v251, 1                              // 000000008450: D1FF00F8 0207F74E
	v_cndmask_b32_e64 v28, v248, v250, s[74:75]                // 000000008458: D100001C 012BF5F8
	v_cmp_u_f32_e64 s[74:75], v79, v79                         // 000000008460: D048004A 00029F4F
	v_add3_u32 v248, v79, v251, 1                              // 000000008468: D1FF00F8 0207F74F
	v_cndmask_b32_e64 v29, v248, v250, s[74:75]                // 000000008470: D100001D 012BF5F8
	v_perm_b32 v75, v29, v28, s64                              // 000000008478: D1ED004B 0102391D
	v_cmp_u_f32_e64 s[74:75], v80, v80                         // 000000008480: D048004A 0002A150
	v_add3_u32 v248, v80, v251, 1                              // 000000008488: D1FF00F8 0207F750
	v_cndmask_b32_e64 v28, v248, v250, s[74:75]                // 000000008490: D100001C 012BF5F8
	v_cmp_u_f32_e64 s[74:75], v81, v81                         // 000000008498: D048004A 0002A351
	v_add3_u32 v248, v81, v251, 1                              // 0000000084A0: D1FF00F8 0207F751
	v_cndmask_b32_e64 v29, v248, v250, s[74:75]                // 0000000084A8: D100001D 012BF5F8
	v_perm_b32 v76, v29, v28, s64                              // 0000000084B0: D1ED004C 0102391D
	v_cmp_u_f32_e64 s[74:75], v82, v82                         // 0000000084B8: D048004A 0002A552
	v_add3_u32 v248, v82, v251, 1                              // 0000000084C0: D1FF00F8 0207F752
	v_cndmask_b32_e64 v28, v248, v250, s[74:75]                // 0000000084C8: D100001C 012BF5F8
	v_cmp_u_f32_e64 s[74:75], v83, v83                         // 0000000084D0: D048004A 0002A753
	v_add3_u32 v248, v83, v251, 1                              // 0000000084D8: D1FF00F8 0207F753
	v_cndmask_b32_e64 v29, v248, v250, s[74:75]                // 0000000084E0: D100001D 012BF5F8
	v_perm_b32 v77, v29, v28, s64                              // 0000000084E8: D1ED004D 0102391D
	v_mfma_f32_16x16x16_bf16 v[212:215], v[122:123], v[146:147], v[212:215]// 0000000084F0: D3E100D4 0753257A
	v_mov_b32_dpp v16, v75 quad_perm:[1,0,3,2] row_mask:0xf bank_mask:0xf// 0000000084F8: 7E2002FA FF00B14B
	v_perm_b32 v51, v16, v75, v15                              // 000000008500: D1ED0033 043E9710
	v_mov_b32_dpp v16, v76 quad_perm:[1,0,3,2] row_mask:0xf bank_mask:0xf// 000000008508: 7E2002FA FF00B14C
	v_mfma_f32_16x16x16_bf16 v[216:219], v[108:109], v[148:149], v[216:219]// 000000008510: D3E100D8 0763296C
	v_perm_b32 v52, v16, v76, v15                              // 000000008518: D1ED0034 043E9910
	v_mov_b32_dpp v16, v77 quad_perm:[1,0,3,2] row_mask:0xf bank_mask:0xf// 000000008520: 7E2002FA FF00B14D
	v_perm_b32 v53, v16, v77, v15                              // 000000008528: D1ED0035 043E9B10
	v_mfma_f32_16x16x16_bf16 v[220:223], v[110:111], v[148:149], v[220:223]// 000000008530: D3E100DC 0773296E
	ds_write_b32 v18, v51 offset:20256                         // 000000008538: D81A4F20 00003312
	v_mfma_f32_16x16x16_bf16 v[224:227], v[112:113], v[148:149], v[224:227]// 000000008540: D3E100E0 07832970
	v_mfma_f32_16x16x16_bf16 v[228:231], v[114:115], v[148:149], v[228:231]// 000000008548: D3E100E4 07932972
	ds_write_b32 v18, v52 offset:22016                         // 000000008550: D81A5600 00003412
	ds_write_b32 v18, v53 offset:22560                         // 000000008558: D81A5820 00003512
	v_mfma_f32_16x16x16_bf16 v[232:235], v[116:117], v[148:149], v[232:235]// 000000008560: D3E100E8 07A32974
	v_mfma_f32_16x16x16_bf16 v[236:239], v[118:119], v[148:149], v[236:239]// 000000008568: D3E100EC 07B32976
	ds_write_b32 v13, v84 offset:4352                          // 000000008570: D81A1100 0000540D
	ds_write_b32 v13, v85 offset:5408                          // 000000008578: D81A1520 0000550D
	v_mfma_f32_16x16x16_bf16 v[240:243], v[120:121], v[148:149], v[240:243]// 000000008580: D3E100F0 07C32978
	s_nop 0                                                    // 000000008588: BF800000
	s_nop 0                                                    // 00000000858C: BF800000
	s_nop 0                                                    // 000000008590: BF800000
	v_mfma_f32_16x16x16_bf16 v[244:247], v[122:123], v[148:149], v[244:247]// 000000008594: D3E100F4 07D3297A
	ds_write_b32 v13, v86 offset:4480                          // 00000000859C: D81A1180 0000560D
	ds_write_b32 v13, v87 offset:5536                          // 0000000085A4: D81A15A0 0000570D
	s_barrier                                                  // 0000000085AC: BF8A0000
	v_mfma_f32_16x16x16_bf16 a[160:163], a[144:145], v[72:73], a[160:163]// 0000000085B0: D3E180A0 0E829190
	buffer_atomic_add_f32 v136, v7, s[32:35], 0 offen          // 0000000085B8: E1341000 80088807
	v_mfma_f32_16x16x16_bf16 a[164:167], a[146:147], v[72:73], a[164:167]// 0000000085C0: D3E180A4 0E929192
	ds_read_b32 v124, v21 offset:50688                         // 0000000085C8: D86CC600 7C000015
	ds_read_b32 v150, v21 offset:50944                         // 0000000085D0: D86CC700 96000015
	v_mfma_f32_16x16x16_bf16 a[168:171], a[148:149], v[72:73], a[168:171]// 0000000085D8: D3E180A8 0EA29194
	s_waitcnt lgkmcnt(6)                                       // 0000000085E0: BF8CC67F
	s_barrier                                                  // 0000000085E4: BF8A0000
	v_mfma_f32_16x16x16_bf16 a[172:175], a[150:151], v[72:73], a[172:175]// 0000000085E8: D3E180AC 0EB29196
	ds_read_b128 v[48:51], v17 offset:17408                    // 0000000085F0: D9FE4400 30000011
	v_mfma_f32_16x16x16_bf16 a[176:179], a[152:153], v[72:73], a[176:179]// 0000000085F8: D3E180B0 0EC29198
	v_mfma_f32_16x16x16_bf16 a[180:183], a[154:155], v[72:73], a[180:183]// 000000008600: D3E180B4 0ED2919A
	ds_read_b128 v[52:55], v17 offset:18560                    // 000000008608: D9FE4880 34000011
	v_mfma_f32_16x16x16_bf16 a[184:187], a[156:157], v[72:73], a[184:187]// 000000008610: D3E180B8 0EE2919C
	buffer_atomic_add_f32 v137, v8, s[32:35], 0 offen          // 000000008618: E1341000 80088908
	v_mfma_f32_16x16x16_bf16 a[188:191], a[158:159], v[72:73], a[188:191]// 000000008620: D3E180BC 0EF2919E
	ds_read_b128 v[56:59], v17 offset:19712                    // 000000008628: D9FE4D00 38000011
	v_mfma_f32_16x16x16_bf16 a[192:195], a[144:145], v[74:75], a[192:195]// 000000008630: D3E180C0 0F029590
	v_mfma_f32_16x16x16_bf16 a[196:199], a[146:147], v[74:75], a[196:199]// 000000008638: D3E180C4 0F129592
	ds_read_b128 v[60:63], v17 offset:20864                    // 000000008640: D9FE5180 3C000011
	v_mfma_f32_16x16x16_bf16 a[200:203], a[148:149], v[74:75], a[200:203]// 000000008648: D3E180C8 0F229594
	v_mfma_f32_16x16x16_bf16 a[204:207], a[150:151], v[74:75], a[204:207]// 000000008650: D3E180CC 0F329596
	ds_read_b128 v[64:67], v17 offset:22016                    // 000000008658: D9FE5600 40000011
	v_mfma_f32_16x16x16_bf16 a[208:211], a[152:153], v[74:75], a[208:211]// 000000008660: D3E180D0 0F429598
	buffer_atomic_add_f32 v138, v7, s[32:35], 0 offen offset:128// 000000008668: E1341080 80088A07
	v_mfma_f32_16x16x16_bf16 a[212:215], a[154:155], v[74:75], a[212:215]// 000000008670: D3E180D4 0F52959A
	ds_read_b128 v[68:71], v17 offset:23168                    // 000000008678: D9FE5A80 44000011
	v_mfma_f32_16x16x16_bf16 a[216:219], a[156:157], v[74:75], a[216:219]// 000000008680: D3E180D8 0F62959C
	v_mfma_f32_16x16x16_bf16 a[220:223], a[158:159], v[74:75], a[220:223]// 000000008688: D3E180DC 0F72959E
	ds_write_b32 v13, v88 offset:13056                         // 000000008690: D81A3300 0000580D
	v_mfma_f32_16x16x16_bf16 a[224:227], a[144:145], v[76:77], a[224:227]// 000000008698: D3E180E0 0F829990
	v_mfma_f32_16x16x16_bf16 a[228:231], a[146:147], v[76:77], a[228:231]// 0000000086A0: D3E180E4 0F929992
	ds_write_b32 v13, v89 offset:14112                         // 0000000086A8: D81A3720 0000590D
	v_mfma_f32_16x16x16_bf16 a[232:235], a[148:149], v[76:77], a[232:235]// 0000000086B0: D3E180E8 0FA29994
	buffer_atomic_add_f32 v139, v8, s[32:35], 0 offen offset:128// 0000000086B8: E1341080 80088B08
	v_mfma_f32_16x16x16_bf16 a[236:239], a[150:151], v[76:77], a[236:239]// 0000000086C0: D3E180EC 0FB29996
	ds_write_b32 v13, v90 offset:13184                         // 0000000086C8: D81A3380 00005A0D
	v_mfma_f32_16x16x16_bf16 a[240:243], a[152:153], v[76:77], a[240:243]// 0000000086D0: D3E180F0 0FC29998
	v_mfma_f32_16x16x16_bf16 a[244:247], a[154:155], v[76:77], a[244:247]// 0000000086D8: D3E180F4 0FD2999A
	ds_write_b32 v13, v91 offset:14240                         // 0000000086E0: D81A37A0 00005B0D
	v_mfma_f32_16x16x16_bf16 a[248:251], a[156:157], v[76:77], a[248:251]// 0000000086E8: D3E180F8 0FE2999C
	v_mfma_f32_16x16x16_bf16 a[252:255], a[158:159], v[76:77], a[252:255]// 0000000086F0: D3E180FC 0FF2999E
	s_waitcnt vmcnt(8) lgkmcnt(4)                              // 0000000086F8: BF8C0478
	s_barrier                                                  // 0000000086FC: BF8A0000
	v_mfma_f32_16x16x16_bf16 v[128:131], v[48:49], a[48:49], 0 // 000000008700: D3E10080 12026130
	v_cmp_eq_u32_e32 vcc, v124, v151                           // 000000008708: 7D952F7C
	v_mov_b32_e32 v28, 0                                       // 00000000870C: 7E380280
	v_cndmask_b32_e32 v124, v124, v28, vcc                     // 000000008710: 00F8397C
	v_mul_f32_e32 v124, s48, v124                              // 000000008714: 0AF8F830
	s_nop 0                                                    // 000000008718: BF800000
	v_mfma_f32_16x16x16_bf16 v[128:131], v[50:51], a[52:53], v[128:131]// 00000000871C: D3E10080 16026932
	ds_read_b128 a[144:147], v10                               // 000000008724: DBFE0000 9000000A
	v_mov_b32_e32 v32, 0                                       // 00000000872C: 7E400280
	s_mov_b64 exec, s[88:89]                                   // 000000008730: BEFE0158
	buffer_load_dword v32, v1, s[8:11], 0 idxen                // 000000008734: E0502000 80022001
	s_mov_b64 exec, s[86:87]                                   // 00000000873C: BEFE0156
	v_mfma_f32_16x16x16_bf16 v[128:131], v[52:53], a[56:57], v[128:131]// 000000008740: D3E10080 16027134
	v_mfma_f32_16x16x16_bf16 v[128:131], v[54:55], a[60:61], v[128:131]// 000000008748: D3E10080 16027936
	ds_read_b128 a[148:151], v10 offset:512                    // 000000008750: DBFE0200 9400000A
	v_mov_b32_e32 v33, 0                                       // 000000008758: 7E420280
	s_mov_b64 exec, s[88:89]                                   // 00000000875C: BEFE0158
	buffer_load_dword v33, v2, s[8:11], 0 idxen                // 000000008760: E0502000 80022102
	s_mov_b64 exec, s[86:87]                                   // 000000008768: BEFE0156
	v_mfma_f32_16x16x16_bf16 v[128:131], v[56:57], a[64:65], v[128:131]// 00000000876C: D3E10080 16028138
	v_perm_b32 v84, v37, v36, s63                              // 000000008774: D1ED0054 00FE4925
	v_perm_b32 v85, v37, v36, s64                              // 00000000877C: D1ED0055 01024925
	v_mfma_f32_16x16x16_bf16 v[128:131], v[58:59], a[68:69], v[128:131]// 000000008784: D3E10080 1602893A
	ds_read_b128 a[152:155], v10 offset:2176                   // 00000000878C: DBFE0880 9800000A
	v_mov_b32_e32 v34, 0                                       // 000000008794: 7E440280
	s_mov_b64 exec, s[88:89]                                   // 000000008798: BEFE0158
	buffer_load_dword v34, v3, s[8:11], 0 idxen                // 00000000879C: E0502000 80022203
	s_mov_b64 exec, s[86:87]                                   // 0000000087A4: BEFE0156
	v_mfma_f32_16x16x16_bf16 v[128:131], v[60:61], a[72:73], v[128:131]// 0000000087A8: D3E10080 1602913C
	v_perm_b32 v86, v39, v38, s63                              // 0000000087B0: D1ED0056 00FE4D27
	v_perm_b32 v87, v39, v38, s64                              // 0000000087B8: D1ED0057 01024D27
	v_mfma_f32_16x16x16_bf16 v[128:131], v[62:63], a[76:77], v[128:131]// 0000000087C0: D3E10080 1602993E
	ds_read_b128 a[156:159], v10 offset:2688                   // 0000000087C8: DBFE0A80 9C00000A
	v_mov_b32_e32 v35, 0                                       // 0000000087D0: 7E460280
	s_mov_b64 exec, s[88:89]                                   // 0000000087D4: BEFE0158
	buffer_load_dword v35, v4, s[8:11], 0 idxen                // 0000000087D8: E0502000 80022304
	s_mov_b64 exec, s[86:87]                                   // 0000000087E0: BEFE0156
	v_mfma_f32_16x16x16_bf16 v[128:131], v[64:65], a[80:81], v[128:131]// 0000000087E4: D3E10080 1602A140
	v_perm_b32 v88, v45, v44, s63                              // 0000000087EC: D1ED0058 00FE592D
	v_perm_b32 v89, v45, v44, s64                              // 0000000087F4: D1ED0059 0102592D
	v_mfma_f32_16x16x16_bf16 v[128:131], v[66:67], a[84:85], v[128:131]// 0000000087FC: D3E10080 1602A942
	ds_read_b128 v[92:95], v10 offset:8704                     // 000000008804: D9FE2200 5C00000A
	v_mov_b32_e32 v40, 0                                       // 00000000880C: 7E500280
	s_mov_b64 exec, s[88:89]                                   // 000000008810: BEFE0158
	buffer_load_dword v40, v252, s[20:23], 0 idxen             // 000000008814: E0502000 800528FC
	s_mov_b64 exec, s[86:87]                                   // 00000000881C: BEFE0156
	v_mfma_f32_16x16x16_bf16 v[128:131], v[68:69], a[88:89], v[128:131]// 000000008820: D3E10080 1602B144
	v_perm_b32 v90, v47, v46, s63                              // 000000008828: D1ED005A 00FE5D2F
	v_perm_b32 v91, v47, v46, s64                              // 000000008830: D1ED005B 01025D2F
	v_mfma_f32_16x16x16_bf16 v[128:131], v[70:71], a[92:93], v[128:131]// 000000008838: D3E10080 1602B946
	ds_read_b128 v[96:99], v10 offset:9216                     // 000000008840: D9FE2400 6000000A
	v_mov_b32_e32 v41, 0                                       // 000000008848: 7E520280
	s_mov_b64 exec, s[88:89]                                   // 00000000884C: BEFE0158
	buffer_load_dword v41, v253, s[20:23], 0 idxen             // 000000008850: E0502000 800529FD
	s_mov_b64 exec, s[86:87]                                   // 000000008858: BEFE0156
	v_mfma_f32_16x16x16_bf16 v[132:135], v[48:49], a[50:51], 0 // 00000000885C: D3E10084 12026530
	v_mov_b32_dpp v127, v124 quad_perm:[3,3,3,3] row_mask:0xf bank_mask:0xf// 000000008864: 7EFE02FA FF00FF7C
	v_mov_b32_dpp v126, v124 quad_perm:[2,2,2,2] row_mask:0xf bank_mask:0xf// 00000000886C: 7EFC02FA FF00AA7C
	v_mfma_f32_16x16x16_bf16 v[132:135], v[50:51], a[54:55], v[132:135]// 000000008874: D3E10084 16126D32
	ds_read_b128 v[100:103], v10 offset:10880                  // 00000000887C: D9FE2A80 6400000A
	v_mov_b32_e32 v42, 0                                       // 000000008884: 7E540280
	s_mov_b64 exec, s[88:89]                                   // 000000008888: BEFE0158
	buffer_load_dword v42, v254, s[20:23], 0 idxen             // 00000000888C: E0502000 80052AFE
	s_mov_b64 exec, s[86:87]                                   // 000000008894: BEFE0156
	v_mfma_f32_16x16x16_bf16 v[132:135], v[52:53], a[58:59], v[132:135]// 000000008898: D3E10084 16127534
	v_mov_b32_dpp v125, v124 quad_perm:[1,1,1,1] row_mask:0xf bank_mask:0xf// 0000000088A0: 7EFA02FA FF00557C
	v_mov_b32_dpp v124, v124 quad_perm:[0,0,0,0] row_mask:0xf bank_mask:0xf// 0000000088A8: 7EF802FA FF00007C
	s_add_u32 s60, 64, s59                                     // 0000000088B0: 803C3BC0
	v_mfma_f32_16x16x16_bf16 v[132:135], v[54:55], a[62:63], v[132:135]// 0000000088B4: D3E10084 16127D36
	ds_read_b128 v[104:107], v10 offset:11392                  // 0000000088BC: D9FE2C80 6800000A
	v_mov_b32_e32 v43, 0                                       // 0000000088C4: 7E560280
	s_mov_b64 exec, s[88:89]                                   // 0000000088C8: BEFE0158
	buffer_load_dword v43, v255, s[20:23], 0 idxen             // 0000000088CC: E0502000 80052BFF
	s_mov_b64 exec, s[86:87]                                   // 0000000088D4: BEFE0156
	v_mfma_f32_16x16x16_bf16 v[132:135], v[56:57], a[66:67], v[132:135]// 0000000088D8: D3E10084 16128538
	s_cmp_lt_u32 s60, s58                                      // 0000000088E0: BF0A3A3C
	s_cselect_b32 s68, s68, 0                                  // 0000000088E4: 85448044
	s_cselect_b32 s97, s97, 0                                  // 0000000088E8: 85618061
	s_cselect_b32 s69, s69, 0                                  // 0000000088EC: 85458045
	v_mfma_f32_16x16x16_bf16 v[132:135], v[58:59], a[70:71], v[132:135]// 0000000088F0: D3E10084 16128D3A
	buffer_load_dword v9, s[24:27], 0 idxen lds                // 0000000088F8: E0512000 80060009
	v_mfma_f32_16x16x16_bf16 v[132:135], v[60:61], a[74:75], v[132:135]// 000000008900: D3E10084 1612953C
	v_add_u32_e32 v1, s68, v1                                  // 000000008908: 68020244
	v_add_u32_e32 v2, s68, v2                                  // 00000000890C: 68040444
	v_add_u32_e32 v3, s68, v3                                  // 000000008910: 68060644
	v_add_u32_e32 v4, s68, v4                                  // 000000008914: 68080844
	v_mfma_f32_16x16x16_bf16 v[132:135], v[62:63], a[78:79], v[132:135]// 000000008918: D3E10084 16129D3E
	v_add_u32_e32 v252, s97, v252                              // 000000008920: 69F9F861
	v_add_u32_e32 v253, s97, v253                              // 000000008924: 69FBFA61
	v_add_u32_e32 v254, s97, v254                              // 000000008928: 69FDFC61
	v_add_u32_e32 v255, s97, v255                              // 00000000892C: 69FFFE61
	v_mfma_f32_16x16x16_bf16 v[132:135], v[64:65], a[82:83], v[132:135]// 000000008930: D3E10084 1612A540
	s_mov_b32 m0, s77                                          // 000000008938: BEFC004D
	v_add_u32_e32 v9, s69, v9                                  // 00000000893C: 68121245
	v_mfma_f32_16x16x16_bf16 v[132:135], v[66:67], a[86:87], v[132:135]// 000000008940: D3E10084 1612AD42
	s_cmp_ge_u32 s59, s101                                     // 000000008948: BF09653B
	s_cselect_b32 s66, s67, s66                                // 00000000894C: 85424243
	v_mfma_f32_16x16x16_bf16 v[132:135], v[68:69], a[90:91], v[132:135]// 000000008950: D3E10084 1612B544
	s_addk_i32 s59, 0x10                                       // 000000008958: B73B0010
	s_nop 0                                                    // 00000000895C: BF800000
	s_cmp_lt_i32 s59, s58                                      // 000000008960: BF043A3B
	v_mfma_f32_16x16x16_bf16 v[132:135], v[70:71], a[94:95], v[132:135]// 000000008964: D3E10084 1612BD46
	s_cbranch_scc0 label_12E9                                  // 00000000896C: BF840001
	s_branch label_09EA                                        // 000000008970: BF82F70D

0000000000008974 <label_12E9>:
	s_nop 0                                                    // 000000008974: BF800000
	s_nop 0                                                    // 000000008978: BF800000
	s_branch label_1BEB                                        // 00000000897C: BF8208F3

0000000000008980 <label_12EC>:
	s_waitcnt lgkmcnt(0)                                       // 000000008980: BF8CC07F
	s_barrier                                                  // 000000008984: BF8A0000
	v_mfma_f32_16x16x16_bf16 v[48:51], a[144:145], a[0:1], 0   // 000000008988: D3E10030 1A020190
	v_mul_f32_e32 v128, s47, v128                              // 000000008990: 0B01002F
	v_mul_f32_e32 v129, s47, v129                              // 000000008994: 0B03022F
	v_mfma_f32_16x16x16_bf16 v[48:51], a[146:147], a[2:3], v[48:51]// 000000008998: D3E10030 1CC20592
	ds_write_b32 v11, v44 offset:8704                          // 0000000089A0: D81A2200 00002C0B
	ds_write_b32 v11, v45 offset:9760                          // 0000000089A8: D81A2620 00002D0B
	v_mfma_f32_16x16x16_bf16 v[48:51], a[148:149], a[4:5], v[48:51]// 0000000089B0: D3E10030 1CC20994
	v_mul_f32_e32 v130, s47, v130                              // 0000000089B8: 0B05042F
	v_mul_f32_e32 v131, s47, v131                              // 0000000089BC: 0B07062F
	v_mfma_f32_16x16x16_bf16 v[48:51], a[150:151], a[6:7], v[48:51]// 0000000089C0: D3E10030 1CC20D96
	ds_write_b32 v11, v46 offset:8832                          // 0000000089C8: D81A2280 00002E0B
	ds_write_b32 v11, v47 offset:9888                          // 0000000089D0: D81A26A0 00002F0B
	v_mfma_f32_16x16x16_bf16 v[48:51], a[152:153], a[8:9], v[48:51]// 0000000089D8: D3E10030 1CC21198
	v_mul_f32_e32 v132, s47, v132                              // 0000000089E0: 0B09082F
	v_mul_f32_e32 v133, s47, v133                              // 0000000089E4: 0B0B0A2F
	v_mfma_f32_16x16x16_bf16 v[48:51], a[154:155], a[10:11], v[48:51]// 0000000089E8: D3E10030 1CC2159A
	ds_write_b64 v20, v[128:129] offset:24320                  // 0000000089F0: D89A5F00 00008014
	v_mfma_f32_16x16x16_bf16 v[48:51], a[156:157], a[12:13], v[48:51]// 0000000089F8: D3E10030 1CC2199C
	v_mul_f32_e32 v134, s47, v134                              // 000000008A00: 0B0D0C2F
	v_mul_f32_e32 v135, s47, v135                              // 000000008A04: 0B0F0E2F
	v_mfma_f32_16x16x16_bf16 v[48:51], a[158:159], a[14:15], v[48:51]// 000000008A08: D3E10030 1CC21D9E
	ds_write_b64 v20, v[130:131] offset:24832                  // 000000008A10: D89A6100 00008214
	v_mfma_f32_16x16x16_bf16 v[52:55], a[144:145], a[16:17], 0 // 000000008A18: D3E10034 1A022190
	buffer_atomic_add_f32 v140, v7, s[32:35], 0 offen offset:256// 000000008A20: E1341100 80088C07
	v_mfma_f32_16x16x16_bf16 v[52:55], a[146:147], a[18:19], v[52:55]// 000000008A28: D3E10034 1CD22592
	ds_write_b64 v20, v[132:133] offset:25344                  // 000000008A30: D89A6300 00008414
	v_mfma_f32_16x16x16_bf16 v[52:55], a[148:149], a[20:21], v[52:55]// 000000008A38: D3E10034 1CD22994
	v_mfma_f32_16x16x16_bf16 v[52:55], a[150:151], a[22:23], v[52:55]// 000000008A40: D3E10034 1CD22D96
	ds_write_b64 v20, v[134:135] offset:25856                  // 000000008A48: D89A6500 00008614
	v_mfma_f32_16x16x16_bf16 v[52:55], a[152:153], a[24:25], v[52:55]// 000000008A50: D3E10034 1CD23198
	buffer_atomic_add_f32 v141, v8, s[32:35], 0 offen offset:256// 000000008A58: E1341100 80088D08
	v_mfma_f32_16x16x16_bf16 v[52:55], a[154:155], a[26:27], v[52:55]// 000000008A60: D3E10034 1CD2359A
	ds_read_b128 v[108:111], v12 offset:13056                  // 000000008A68: D9FE3300 6C00000C
	ds_write_b32 v11, v36                                      // 000000008A70: D81A0000 0000240B
	v_mfma_f32_16x16x16_bf16 v[52:55], a[156:157], a[28:29], v[52:55]// 000000008A78: D3E10034 1CD2399C
	v_mfma_f32_16x16x16_bf16 v[52:55], a[158:159], a[30:31], v[52:55]// 000000008A80: D3E10034 1CD23D9E
	v_mfma_f32_16x16x16_bf16 v[56:59], a[144:145], a[32:33], 0 // 000000008A88: D3E10038 1A024190
	ds_read_b128 v[112:115], v12 offset:13568                  // 000000008A90: D9FE3500 7000000C
	ds_write_b32 v11, v37 offset:1056                          // 000000008A98: D81A0420 0000250B
	v_mfma_f32_16x16x16_bf16 v[56:59], a[146:147], a[34:35], v[56:59]// 000000008AA0: D3E10038 1CE24592
	buffer_atomic_add_f32 v142, v7, s[32:35], 0 offen offset:384// 000000008AA8: E1341180 80088E07
	v_mfma_f32_16x16x16_bf16 v[56:59], a[148:149], a[36:37], v[56:59]// 000000008AB0: D3E10038 1CE24994
	v_mfma_f32_16x16x16_bf16 v[56:59], a[150:151], a[38:39], v[56:59]// 000000008AB8: D3E10038 1CE24D96
	ds_read_b128 v[116:119], v12 offset:15232                  // 000000008AC0: D9FE3B80 7400000C
	ds_write_b32 v11, v38 offset:128                           // 000000008AC8: D81A0080 0000260B
	v_mfma_f32_16x16x16_bf16 v[56:59], a[152:153], a[40:41], v[56:59]// 000000008AD0: D3E10038 1CE25198
	v_mfma_f32_16x16x16_bf16 v[56:59], a[154:155], a[42:43], v[56:59]// 000000008AD8: D3E10038 1CE2559A
	buffer_atomic_add_f32 v143, v8, s[32:35], 0 offen offset:384// 000000008AE0: E1341180 80088F08
	v_mfma_f32_16x16x16_bf16 v[56:59], a[156:157], a[44:45], v[56:59]// 000000008AE8: D3E10038 1CE2599C
	ds_read_b128 v[120:123], v12 offset:15744                  // 000000008AF0: D9FE3D80 7800000C
	ds_write_b32 v11, v39 offset:1184                          // 000000008AF8: D81A04A0 0000270B
	v_mfma_f32_16x16x16_bf16 v[56:59], a[158:159], a[46:47], v[56:59]// 000000008B00: D3E10038 1CE25D9E
	s_add_i32 s82, s59, s99                                    // 000000008B08: 8152633B
	s_sub_i32 s82, s82, 1                                      // 000000008B0C: 81D28152
	s_add_i32 s81, s59, 16                                     // 000000008B10: 8151903B
	s_sub_i32 s81, s81, s100                                   // 000000008B14: 81D16451
	s_add_i32 s81, s81, 1                                      // 000000008B18: 81518151
	s_branch label_1354                                        // 000000008B1C: BF820000

0000000000008b20 <label_1354>:
	s_add_i32 s62, 0, s46                                      // 000000008B20: 813E2E80
	s_mul_i32 s62, s62, 16                                     // 000000008B24: 923E903E
	s_add_i32 s62, s80, s62                                    // 000000008B28: 813E3E50
	s_add_i32 s61, s62, 16                                     // 000000008B2C: 813D903E
	s_add_i32 s61, s61, 16                                     // 000000008B30: 813D903D
	s_cmp_lt_i32 s61, s81                                      // 000000008B34: BF04513D
	s_cselect_b32 s60, 1, 0                                    // 000000008B38: 853C8081
	s_sub_i32 s62, s62, 16                                     // 000000008B3C: 81BE903E
	s_cmp_gt_i32 s62, s82                                      // 000000008B40: BF02523E
	s_cselect_b32 s61, 1, 0                                    // 000000008B44: 853D8081
	s_or_b32 s60, s60, s61                                     // 000000008B48: 873C3D3C
	s_cmp_eq_i32 s60, 1                                        // 000000008B4C: BF00813C
	s_cbranch_scc1 label_13E7                                  // 000000008B50: BF850085
	s_add_i32 s61, s62, 32                                     // 000000008B54: 813DA03E
	s_add_i32 s62, s62, 16                                     // 000000008B58: 813E903E
	s_cmp_lt_i32 s62, s81                                      // 000000008B5C: BF04513E
	s_cselect_b32 s60, 1, 0                                    // 000000008B60: 853C8081
	s_cmp_gt_i32 s61, s82                                      // 000000008B64: BF02523D
	s_cselect_b32 s61, 1, 0                                    // 000000008B68: 853D8081
	s_or_b32 s60, s60, s61                                     // 000000008B6C: 873C3D3C
	s_cmp_eq_i32 s60, 1                                        // 000000008B70: BF00813C
	s_cbranch_scc1 label_139A                                  // 000000008B74: BF85002F
	s_branch label_136B                                        // 000000008B78: BF820000

0000000000008b7c <label_136B>:
	s_add_i32 s62, 4, s46                                      // 000000008B7C: 813E2E84
	s_mul_i32 s62, s62, 16                                     // 000000008B80: 923E903E
	s_add_i32 s62, s80, s62                                    // 000000008B84: 813E3E50
	s_add_i32 s61, s62, 16                                     // 000000008B88: 813D903E
	s_add_i32 s61, s61, 16                                     // 000000008B8C: 813D903D
	s_cmp_lt_i32 s61, s81                                      // 000000008B90: BF04513D
	s_cselect_b32 s60, 1, 0                                    // 000000008B94: 853C8081
	s_sub_i32 s62, s62, 16                                     // 000000008B98: 81BE903E
	s_cmp_gt_i32 s62, s82                                      // 000000008B9C: BF02523E
	s_cselect_b32 s61, 1, 0                                    // 000000008BA0: 853D8081
	s_or_b32 s60, s60, s61                                     // 000000008BA4: 873C3D3C
	s_cmp_eq_i32 s60, 1                                        // 000000008BA8: BF00813C
	s_cbranch_scc1 label_1439                                  // 000000008BAC: BF8500C0
	s_add_i32 s61, s62, 32                                     // 000000008BB0: 813DA03E
	s_add_i32 s62, s62, 16                                     // 000000008BB4: 813E903E
	s_cmp_lt_i32 s62, s81                                      // 000000008BB8: BF04513E
	s_cselect_b32 s60, 1, 0                                    // 000000008BBC: 853C8081
	s_cmp_gt_i32 s61, s82                                      // 000000008BC0: BF02523D
	s_cselect_b32 s61, 1, 0                                    // 000000008BC4: 853D8081
	s_or_b32 s60, s60, s61                                     // 000000008BC8: 873C3D3C
	s_cmp_eq_i32 s60, 1                                        // 000000008BCC: BF00813C
	s_cbranch_scc1 label_13EC                                  // 000000008BD0: BF85006A
	s_branch label_1382                                        // 000000008BD4: BF820000

0000000000008bd8 <label_1382>:
	s_add_i32 s62, 8, s46                                      // 000000008BD8: 813E2E88
	s_mul_i32 s62, s62, 16                                     // 000000008BDC: 923E903E
	s_add_i32 s62, s80, s62                                    // 000000008BE0: 813E3E50
	s_add_i32 s61, s62, 16                                     // 000000008BE4: 813D903E
	s_add_i32 s61, s61, 16                                     // 000000008BE8: 813D903D
	s_cmp_lt_i32 s61, s81                                      // 000000008BEC: BF04513D
	s_cselect_b32 s60, 1, 0                                    // 000000008BF0: 853C8081
	s_sub_i32 s62, s62, 16                                     // 000000008BF4: 81BE903E
	s_cmp_gt_i32 s62, s82                                      // 000000008BF8: BF02523E
	s_cselect_b32 s61, 1, 0                                    // 000000008BFC: 853D8081
	s_or_b32 s60, s60, s61                                     // 000000008C00: 873C3D3C
	s_cmp_eq_i32 s60, 1                                        // 000000008C04: BF00813C
	s_cbranch_scc1 label_148B                                  // 000000008C08: BF8500FB
	s_add_i32 s61, s62, 32                                     // 000000008C0C: 813DA03E
	s_add_i32 s62, s62, 16                                     // 000000008C10: 813E903E
	s_cmp_lt_i32 s62, s81                                      // 000000008C14: BF04513E
	s_cselect_b32 s60, 1, 0                                    // 000000008C18: 853C8081
	s_cmp_gt_i32 s61, s82                                      // 000000008C1C: BF02523D
	s_cselect_b32 s61, 1, 0                                    // 000000008C20: 853D8081
	s_or_b32 s60, s60, s61                                     // 000000008C24: 873C3D3C
	s_cmp_eq_i32 s60, 1                                        // 000000008C28: BF00813C
	s_cbranch_scc1 label_143E                                  // 000000008C2C: BF8500A5
	s_branch label_1490                                        // 000000008C30: BF8200F6

0000000000008c34 <label_139A>:
	v_and_b32_e32 v28, 15, v0                                  // 000000008C34: 2638008F
	v_add_u32_e32 v28, s62, v28                                // 000000008C38: 6838383E
	v_lshrrev_b32_e32 v29, 4, v0                               // 000000008C3C: 203A0084
	v_lshlrev_b32_e32 v29, 2, v29                              // 000000008C40: 243A3A82
	v_add_i32 v29, 0, v29                                      // 000000008C44: D29C001D 00023A80
	v_add_i32 v29, s59, v29                                    // 000000008C4C: D29C001D 00023A3B
	v_sub_i32 v29, v29, v28                                    // 000000008C54: D29D001D 0002391D
	v_cmp_ge_i32_e64 vcc, v29, s100                            // 000000008C5C: D0C6006A 0000C91D
	v_sub_i32 v29, 0, v29                                      // 000000008C64: D29D001D 00023A80
	v_cndmask_b32_e32 v48, v48, v151, vcc                      // 000000008C6C: 00612F30
	v_cmp_ge_i32_e64 vcc, v29, s99                             // 000000008C70: D0C6006A 0000C71D
	s_nop 1                                                    // 000000008C78: BF800001
	v_cndmask_b32_e32 v48, v48, v151, vcc                      // 000000008C7C: 00612F30
	v_and_b32_e32 v28, 15, v0                                  // 000000008C80: 2638008F
	v_add_u32_e32 v28, s62, v28                                // 000000008C84: 6838383E
	v_lshrrev_b32_e32 v29, 4, v0                               // 000000008C88: 203A0084
	v_lshlrev_b32_e32 v29, 2, v29                              // 000000008C8C: 243A3A82
	v_add_i32 v29, 1, v29                                      // 000000008C90: D29C001D 00023A81
	v_add_i32 v29, s59, v29                                    // 000000008C98: D29C001D 00023A3B
	v_sub_i32 v29, v29, v28                                    // 000000008CA0: D29D001D 0002391D
	v_cmp_ge_i32_e64 vcc, v29, s100                            // 000000008CA8: D0C6006A 0000C91D
	v_sub_i32 v29, 0, v29                                      // 000000008CB0: D29D001D 00023A80
	v_cndmask_b32_e32 v49, v49, v151, vcc                      // 000000008CB8: 00632F31
	v_cmp_ge_i32_e64 vcc, v29, s99                             // 000000008CBC: D0C6006A 0000C71D
	s_nop 1                                                    // 000000008CC4: BF800001
	v_cndmask_b32_e32 v49, v49, v151, vcc                      // 000000008CC8: 00632F31
	v_and_b32_e32 v28, 15, v0                                  // 000000008CCC: 2638008F
	v_add_u32_e32 v28, s62, v28                                // 000000008CD0: 6838383E
	v_lshrrev_b32_e32 v29, 4, v0                               // 000000008CD4: 203A0084
	v_lshlrev_b32_e32 v29, 2, v29                              // 000000008CD8: 243A3A82
	v_add_i32 v29, 2, v29                                      // 000000008CDC: D29C001D 00023A82
	v_add_i32 v29, s59, v29                                    // 000000008CE4: D29C001D 00023A3B
	v_sub_i32 v29, v29, v28                                    // 000000008CEC: D29D001D 0002391D
	v_cmp_ge_i32_e64 vcc, v29, s100                            // 000000008CF4: D0C6006A 0000C91D
	v_sub_i32 v29, 0, v29                                      // 000000008CFC: D29D001D 00023A80
	v_cndmask_b32_e32 v50, v50, v151, vcc                      // 000000008D04: 00652F32
	v_cmp_ge_i32_e64 vcc, v29, s99                             // 000000008D08: D0C6006A 0000C71D
	s_nop 1                                                    // 000000008D10: BF800001
	v_cndmask_b32_e32 v50, v50, v151, vcc                      // 000000008D14: 00652F32
	v_and_b32_e32 v28, 15, v0                                  // 000000008D18: 2638008F
	v_add_u32_e32 v28, s62, v28                                // 000000008D1C: 6838383E
	v_lshrrev_b32_e32 v29, 4, v0                               // 000000008D20: 203A0084
	v_lshlrev_b32_e32 v29, 2, v29                              // 000000008D24: 243A3A82
	v_add_i32 v29, 3, v29                                      // 000000008D28: D29C001D 00023A83
	v_add_i32 v29, s59, v29                                    // 000000008D30: D29C001D 00023A3B
	v_sub_i32 v29, v29, v28                                    // 000000008D38: D29D001D 0002391D
	v_cmp_ge_i32_e64 vcc, v29, s100                            // 000000008D40: D0C6006A 0000C91D
	v_sub_i32 v29, 0, v29                                      // 000000008D48: D29D001D 00023A80
	v_cndmask_b32_e32 v51, v51, v151, vcc                      // 000000008D50: 00672F33
	v_cmp_ge_i32_e64 vcc, v29, s99                             // 000000008D54: D0C6006A 0000C71D
	s_nop 1                                                    // 000000008D5C: BF800001
	v_cndmask_b32_e32 v51, v51, v151, vcc                      // 000000008D60: 00672F33
	s_branch label_136B                                        // 000000008D64: BF82FF85

0000000000008d68 <label_13E7>:
	v_mov_b32_e32 v48, v151                                    // 000000008D68: 7E600397
	v_mov_b32_e32 v49, v151                                    // 000000008D6C: 7E620397
	v_mov_b32_e32 v50, v151                                    // 000000008D70: 7E640397
	v_mov_b32_e32 v51, v151                                    // 000000008D74: 7E660397
	s_branch label_136B                                        // 000000008D78: BF82FF80

0000000000008d7c <label_13EC>:
	v_and_b32_e32 v28, 15, v0                                  // 000000008D7C: 2638008F
	v_add_u32_e32 v28, s62, v28                                // 000000008D80: 6838383E
	v_lshrrev_b32_e32 v29, 4, v0                               // 000000008D84: 203A0084
	v_lshlrev_b32_e32 v29, 2, v29                              // 000000008D88: 243A3A82
	v_add_i32 v29, 0, v29                                      // 000000008D8C: D29C001D 00023A80
	v_add_i32 v29, s59, v29                                    // 000000008D94: D29C001D 00023A3B
	v_sub_i32 v29, v29, v28                                    // 000000008D9C: D29D001D 0002391D
	v_cmp_ge_i32_e64 vcc, v29, s100                            // 000000008DA4: D0C6006A 0000C91D
	v_sub_i32 v29, 0, v29                                      // 000000008DAC: D29D001D 00023A80
	v_cndmask_b32_e32 v52, v52, v151, vcc                      // 000000008DB4: 00692F34
	v_cmp_ge_i32_e64 vcc, v29, s99                             // 000000008DB8: D0C6006A 0000C71D
	s_nop 1                                                    // 000000008DC0: BF800001
	v_cndmask_b32_e32 v52, v52, v151, vcc                      // 000000008DC4: 00692F34
	v_and_b32_e32 v28, 15, v0                                  // 000000008DC8: 2638008F
	v_add_u32_e32 v28, s62, v28                                // 000000008DCC: 6838383E
	v_lshrrev_b32_e32 v29, 4, v0                               // 000000008DD0: 203A0084
	v_lshlrev_b32_e32 v29, 2, v29                              // 000000008DD4: 243A3A82
	v_add_i32 v29, 1, v29                                      // 000000008DD8: D29C001D 00023A81
	v_add_i32 v29, s59, v29                                    // 000000008DE0: D29C001D 00023A3B
	v_sub_i32 v29, v29, v28                                    // 000000008DE8: D29D001D 0002391D
	v_cmp_ge_i32_e64 vcc, v29, s100                            // 000000008DF0: D0C6006A 0000C91D
	v_sub_i32 v29, 0, v29                                      // 000000008DF8: D29D001D 00023A80
	v_cndmask_b32_e32 v53, v53, v151, vcc                      // 000000008E00: 006B2F35
	v_cmp_ge_i32_e64 vcc, v29, s99                             // 000000008E04: D0C6006A 0000C71D
	s_nop 1                                                    // 000000008E0C: BF800001
	v_cndmask_b32_e32 v53, v53, v151, vcc                      // 000000008E10: 006B2F35
	v_and_b32_e32 v28, 15, v0                                  // 000000008E14: 2638008F
	v_add_u32_e32 v28, s62, v28                                // 000000008E18: 6838383E
	v_lshrrev_b32_e32 v29, 4, v0                               // 000000008E1C: 203A0084
	v_lshlrev_b32_e32 v29, 2, v29                              // 000000008E20: 243A3A82
	v_add_i32 v29, 2, v29                                      // 000000008E24: D29C001D 00023A82
	v_add_i32 v29, s59, v29                                    // 000000008E2C: D29C001D 00023A3B
	v_sub_i32 v29, v29, v28                                    // 000000008E34: D29D001D 0002391D
	v_cmp_ge_i32_e64 vcc, v29, s100                            // 000000008E3C: D0C6006A 0000C91D
	v_sub_i32 v29, 0, v29                                      // 000000008E44: D29D001D 00023A80
	v_cndmask_b32_e32 v54, v54, v151, vcc                      // 000000008E4C: 006D2F36
	v_cmp_ge_i32_e64 vcc, v29, s99                             // 000000008E50: D0C6006A 0000C71D
	s_nop 1                                                    // 000000008E58: BF800001
	v_cndmask_b32_e32 v54, v54, v151, vcc                      // 000000008E5C: 006D2F36
	v_and_b32_e32 v28, 15, v0                                  // 000000008E60: 2638008F
	v_add_u32_e32 v28, s62, v28                                // 000000008E64: 6838383E
	v_lshrrev_b32_e32 v29, 4, v0                               // 000000008E68: 203A0084
	v_lshlrev_b32_e32 v29, 2, v29                              // 000000008E6C: 243A3A82
	v_add_i32 v29, 3, v29                                      // 000000008E70: D29C001D 00023A83
	v_add_i32 v29, s59, v29                                    // 000000008E78: D29C001D 00023A3B
	v_sub_i32 v29, v29, v28                                    // 000000008E80: D29D001D 0002391D
	v_cmp_ge_i32_e64 vcc, v29, s100                            // 000000008E88: D0C6006A 0000C91D
	v_sub_i32 v29, 0, v29                                      // 000000008E90: D29D001D 00023A80
	v_cndmask_b32_e32 v55, v55, v151, vcc                      // 000000008E98: 006F2F37
	v_cmp_ge_i32_e64 vcc, v29, s99                             // 000000008E9C: D0C6006A 0000C71D
	s_nop 1                                                    // 000000008EA4: BF800001
	v_cndmask_b32_e32 v55, v55, v151, vcc                      // 000000008EA8: 006F2F37
	s_branch label_1382                                        // 000000008EAC: BF82FF4A

0000000000008eb0 <label_1439>:
	v_mov_b32_e32 v52, v151                                    // 000000008EB0: 7E680397
	v_mov_b32_e32 v53, v151                                    // 000000008EB4: 7E6A0397
	v_mov_b32_e32 v54, v151                                    // 000000008EB8: 7E6C0397
	v_mov_b32_e32 v55, v151                                    // 000000008EBC: 7E6E0397
	s_branch label_1382                                        // 000000008EC0: BF82FF45

0000000000008ec4 <label_143E>:
	v_and_b32_e32 v28, 15, v0                                  // 000000008EC4: 2638008F
	v_add_u32_e32 v28, s62, v28                                // 000000008EC8: 6838383E
	v_lshrrev_b32_e32 v29, 4, v0                               // 000000008ECC: 203A0084
	v_lshlrev_b32_e32 v29, 2, v29                              // 000000008ED0: 243A3A82
	v_add_i32 v29, 0, v29                                      // 000000008ED4: D29C001D 00023A80
	v_add_i32 v29, s59, v29                                    // 000000008EDC: D29C001D 00023A3B
	v_sub_i32 v29, v29, v28                                    // 000000008EE4: D29D001D 0002391D
	v_cmp_ge_i32_e64 vcc, v29, s100                            // 000000008EEC: D0C6006A 0000C91D
	v_sub_i32 v29, 0, v29                                      // 000000008EF4: D29D001D 00023A80
	v_cndmask_b32_e32 v56, v56, v151, vcc                      // 000000008EFC: 00712F38
	v_cmp_ge_i32_e64 vcc, v29, s99                             // 000000008F00: D0C6006A 0000C71D
	s_nop 1                                                    // 000000008F08: BF800001
	v_cndmask_b32_e32 v56, v56, v151, vcc                      // 000000008F0C: 00712F38
	v_and_b32_e32 v28, 15, v0                                  // 000000008F10: 2638008F
	v_add_u32_e32 v28, s62, v28                                // 000000008F14: 6838383E
	v_lshrrev_b32_e32 v29, 4, v0                               // 000000008F18: 203A0084
	v_lshlrev_b32_e32 v29, 2, v29                              // 000000008F1C: 243A3A82
	v_add_i32 v29, 1, v29                                      // 000000008F20: D29C001D 00023A81
	v_add_i32 v29, s59, v29                                    // 000000008F28: D29C001D 00023A3B
	v_sub_i32 v29, v29, v28                                    // 000000008F30: D29D001D 0002391D
	v_cmp_ge_i32_e64 vcc, v29, s100                            // 000000008F38: D0C6006A 0000C91D
	v_sub_i32 v29, 0, v29                                      // 000000008F40: D29D001D 00023A80
	v_cndmask_b32_e32 v57, v57, v151, vcc                      // 000000008F48: 00732F39
	v_cmp_ge_i32_e64 vcc, v29, s99                             // 000000008F4C: D0C6006A 0000C71D
	s_nop 1                                                    // 000000008F54: BF800001
	v_cndmask_b32_e32 v57, v57, v151, vcc                      // 000000008F58: 00732F39
	v_and_b32_e32 v28, 15, v0                                  // 000000008F5C: 2638008F
	v_add_u32_e32 v28, s62, v28                                // 000000008F60: 6838383E
	v_lshrrev_b32_e32 v29, 4, v0                               // 000000008F64: 203A0084
	v_lshlrev_b32_e32 v29, 2, v29                              // 000000008F68: 243A3A82
	v_add_i32 v29, 2, v29                                      // 000000008F6C: D29C001D 00023A82
	v_add_i32 v29, s59, v29                                    // 000000008F74: D29C001D 00023A3B
	v_sub_i32 v29, v29, v28                                    // 000000008F7C: D29D001D 0002391D
	v_cmp_ge_i32_e64 vcc, v29, s100                            // 000000008F84: D0C6006A 0000C91D
	v_sub_i32 v29, 0, v29                                      // 000000008F8C: D29D001D 00023A80
	v_cndmask_b32_e32 v58, v58, v151, vcc                      // 000000008F94: 00752F3A
	v_cmp_ge_i32_e64 vcc, v29, s99                             // 000000008F98: D0C6006A 0000C71D
	s_nop 1                                                    // 000000008FA0: BF800001
	v_cndmask_b32_e32 v58, v58, v151, vcc                      // 000000008FA4: 00752F3A
	v_and_b32_e32 v28, 15, v0                                  // 000000008FA8: 2638008F
	v_add_u32_e32 v28, s62, v28                                // 000000008FAC: 6838383E
	v_lshrrev_b32_e32 v29, 4, v0                               // 000000008FB0: 203A0084
	v_lshlrev_b32_e32 v29, 2, v29                              // 000000008FB4: 243A3A82
	v_add_i32 v29, 3, v29                                      // 000000008FB8: D29C001D 00023A83
	v_add_i32 v29, s59, v29                                    // 000000008FC0: D29C001D 00023A3B
	v_sub_i32 v29, v29, v28                                    // 000000008FC8: D29D001D 0002391D
	v_cmp_ge_i32_e64 vcc, v29, s100                            // 000000008FD0: D0C6006A 0000C91D
	v_sub_i32 v29, 0, v29                                      // 000000008FD8: D29D001D 00023A80
	v_cndmask_b32_e32 v59, v59, v151, vcc                      // 000000008FE0: 00772F3B
	v_cmp_ge_i32_e64 vcc, v29, s99                             // 000000008FE4: D0C6006A 0000C71D
	s_nop 1                                                    // 000000008FEC: BF800001
	v_cndmask_b32_e32 v59, v59, v151, vcc                      // 000000008FF0: 00772F3B
	s_branch label_1490                                        // 000000008FF4: BF820005

0000000000008ff8 <label_148B>:
	v_mov_b32_e32 v56, v151                                    // 000000008FF8: 7E700397
	v_mov_b32_e32 v57, v151                                    // 000000008FFC: 7E720397
	v_mov_b32_e32 v58, v151                                    // 000000009000: 7E740397
	v_mov_b32_e32 v59, v151                                    // 000000009004: 7E760397
	s_branch label_1490                                        // 000000009008: BF820000

000000000000900c <label_1490>:
	s_cmp_lt_i32 s94, 0xc0                                     // 00000000900C: BF04FF5E 000000C0
	s_cbranch_scc0 label_14E5                                  // 000000009014: BF84004D
	s_cmp_le_i32 s94, 64                                       // 000000009018: BF05C05E
	s_cbranch_scc1 label_149C                                  // 00000000901C: BF850007
	s_cmp_le_i32 s94, 0x80                                     // 000000009020: BF05FF5E 00000080
	s_cbranch_scc1 label_14B4                                  // 000000009028: BF850017
	s_cmp_lt_i32 s94, 0xc0                                     // 00000000902C: BF04FF5E 000000C0
	s_cbranch_scc1 label_14CC                                  // 000000009034: BF85002C
	s_branch label_14E5                                        // 000000009038: BF820044

000000000000903c <label_149C>:
	s_mov_b32 s60, 0                                           // 00000000903C: BEBC0080
	v_and_b32_e32 v28, 15, v0                                  // 000000009040: 2638008F
	v_add_u32_e64 v28, v28, s60                                // 000000009044: D134001C 0000791C
	v_mul_i32_i24_e64 v29, s46, 16                             // 00000000904C: D106001D 0001202E
	v_add_u32_e32 v28, v28, v29                                // 000000009054: 68383B1C
	v_cmp_lt_u32_e64 s[60:61], v28, s94                        // 000000009058: D0C9003C 0000BD1C
	s_nop 1                                                    // 000000009060: BF800001
	v_cndmask_b32_e64 v48, v151, v48, s[60:61]                 // 000000009064: D1000030 00F26197
	v_cndmask_b32_e64 v49, v151, v49, s[60:61]                 // 00000000906C: D1000031 00F26397
	v_cndmask_b32_e64 v50, v151, v50, s[60:61]                 // 000000009074: D1000032 00F26597
	v_cndmask_b32_e64 v51, v151, v51, s[60:61]                 // 00000000907C: D1000033 00F26797
	s_branch label_14C7                                        // 000000009084: BF820013

0000000000009088 <label_14B4>:
	s_mov_b32 s60, 64                                          // 000000009088: BEBC00C0
	v_and_b32_e32 v28, 15, v0                                  // 00000000908C: 2638008F
	v_add_u32_e64 v28, v28, s60                                // 000000009090: D134001C 0000791C
	v_mul_i32_i24_e64 v29, s46, 16                             // 000000009098: D106001D 0001202E
	v_add_u32_e32 v28, v28, v29                                // 0000000090A0: 68383B1C
	v_cmp_lt_u32_e64 s[60:61], v28, s94                        // 0000000090A4: D0C9003C 0000BD1C
	s_nop 1                                                    // 0000000090AC: BF800001
	v_cndmask_b32_e64 v52, v151, v52, s[60:61]                 // 0000000090B0: D1000034 00F26997
	v_cndmask_b32_e64 v53, v151, v53, s[60:61]                 // 0000000090B8: D1000035 00F26B97
	v_cndmask_b32_e64 v54, v151, v54, s[60:61]                 // 0000000090C0: D1000036 00F26D97
	v_cndmask_b32_e64 v55, v151, v55, s[60:61]                 // 0000000090C8: D1000037 00F26F97
	s_branch label_14E0                                        // 0000000090D0: BF820019

00000000000090d4 <label_14C7>:
	v_mov_b32_e32 v52, v151                                    // 0000000090D4: 7E680397
	v_mov_b32_e32 v53, v151                                    // 0000000090D8: 7E6A0397
	v_mov_b32_e32 v54, v151                                    // 0000000090DC: 7E6C0397
	v_mov_b32_e32 v55, v151                                    // 0000000090E0: 7E6E0397
	s_branch label_14E0                                        // 0000000090E4: BF820014

00000000000090e8 <label_14CC>:
	s_mov_b32 s60, 0x80                                        // 0000000090E8: BEBC00FF 00000080
	v_and_b32_e32 v28, 15, v0                                  // 0000000090F0: 2638008F
	v_add_u32_e64 v28, v28, s60                                // 0000000090F4: D134001C 0000791C
	v_mul_i32_i24_e64 v29, s46, 16                             // 0000000090FC: D106001D 0001202E
	v_add_u32_e32 v28, v28, v29                                // 000000009104: 68383B1C
	v_cmp_lt_u32_e64 s[60:61], v28, s94                        // 000000009108: D0C9003C 0000BD1C
	s_nop 1                                                    // 000000009110: BF800001
	v_cndmask_b32_e64 v56, v151, v56, s[60:61]                 // 000000009114: D1000038 00F27197
	v_cndmask_b32_e64 v57, v151, v57, s[60:61]                 // 00000000911C: D1000039 00F27397
	v_cndmask_b32_e64 v58, v151, v58, s[60:61]                 // 000000009124: D100003A 00F27597
	v_cndmask_b32_e64 v59, v151, v59, s[60:61]                 // 00000000912C: D100003B 00F27797
	s_branch label_14E5                                        // 000000009134: BF820005

0000000000009138 <label_14E0>:
	v_mov_b32_e32 v56, v151                                    // 000000009138: 7E700397
	v_mov_b32_e32 v57, v151                                    // 00000000913C: 7E720397
	v_mov_b32_e32 v58, v151                                    // 000000009140: 7E740397
	v_mov_b32_e32 v59, v151                                    // 000000009144: 7E760397
	s_branch label_14E5                                        // 000000009148: BF820000

000000000000914c <label_14E5>:
	s_waitcnt lgkmcnt(8)                                       // 00000000914C: BF8CC87F
	s_barrier                                                  // 000000009150: BF8A0000
	v_mfma_f32_16x16x16_bf16 v[72:75], v[92:93], a[96:97], 0   // 000000009154: D3E10048 1202C15C
	v_fma_f32 v48, v48, s57, -v124                             // 00000000915C: D1CB0030 85F07330
	v_fma_f32 v49, v49, s57, -v125                             // 000000009164: D1CB0031 85F47331
	v_fma_f32 v50, v50, s57, -v126                             // 00000000916C: D1CB0032 85F87332
	v_mfma_f32_16x16x16_bf16 v[72:75], v[94:95], a[98:99], v[72:75]// 000000009174: D3E10048 1522C55E
	ds_read_b128 a[144:147], v12 offset:4352                   // 00000000917C: DBFE1100 9000000C
	ds_read_b128 a[148:151], v12 offset:4864                   // 000000009184: DBFE1300 9400000C
	v_mfma_f32_16x16x16_bf16 v[72:75], v[96:97], a[100:101], v[72:75]// 00000000918C: D3E10048 1522C960
	v_fma_f32 v51, v51, s57, -v127                             // 000000009194: D1CB0033 85FC7333
	v_fma_f32 v52, v52, s57, -v124                             // 00000000919C: D1CB0034 85F07334
	v_fma_f32 v53, v53, s57, -v125                             // 0000000091A4: D1CB0035 85F47335
	v_mfma_f32_16x16x16_bf16 v[72:75], v[98:99], a[102:103], v[72:75]// 0000000091AC: D3E10048 1522CD62
	v_fma_f32 v54, v54, s57, -v126                             // 0000000091B4: D1CB0036 85F87336
	v_fma_f32 v55, v55, s57, -v127                             // 0000000091BC: D1CB0037 85FC7337
	v_fma_f32 v56, v56, s57, -v124                             // 0000000091C4: D1CB0038 85F07338
	v_mfma_f32_16x16x16_bf16 v[72:75], v[100:101], a[104:105], v[72:75]// 0000000091CC: D3E10048 1522D164
	v_fma_f32 v57, v57, s57, -v125                             // 0000000091D4: D1CB0039 85F47339
	v_fma_f32 v58, v58, s57, -v126                             // 0000000091DC: D1CB003A 85F8733A
	v_fma_f32 v59, v59, s57, -v127                             // 0000000091E4: D1CB003B 85FC733B
	v_mfma_f32_16x16x16_bf16 v[72:75], v[102:103], a[106:107], v[72:75]// 0000000091EC: D3E10048 1522D566
	ds_read_b128 a[152:155], v12 offset:6528                   // 0000000091F4: DBFE1980 9800000C
	ds_read_b128 a[156:159], v12 offset:7040                   // 0000000091FC: DBFE1B80 9C00000C
	v_mfma_f32_16x16x16_bf16 v[72:75], v[104:105], a[108:109], v[72:75]// 000000009204: D3E10048 1522D968
	v_exp_f32_e32 v48, v48                                     // 00000000920C: 7E604130
	v_mfma_f32_16x16x16_bf16 v[72:75], v[106:107], a[110:111], v[72:75]// 000000009210: D3E10048 1522DD6A
	v_exp_f32_e32 v49, v49                                     // 000000009218: 7E624131
	v_mfma_f32_16x16x16_bf16 v[76:79], v[92:93], a[112:113], 0 // 00000000921C: D3E1004C 1202E15C
	v_exp_f32_e32 v50, v50                                     // 000000009224: 7E644132
	v_mfma_f32_16x16x16_bf16 v[76:79], v[94:95], a[114:115], v[76:79]// 000000009228: D3E1004C 1532E55E
	ds_read_b64 v[136:137], v19 offset:24320                   // 000000009230: D8EC5F00 88000013
	ds_read_b64 v[138:139], v19 offset:26368                   // 000000009238: D8EC6700 8A000013
	v_mfma_f32_16x16x16_bf16 v[76:79], v[96:97], a[116:117], v[76:79]// 000000009240: D3E1004C 1532E960
	v_exp_f32_e32 v51, v51                                     // 000000009248: 7E664133
	v_mfma_f32_16x16x16_bf16 v[76:79], v[98:99], a[118:119], v[76:79]// 00000000924C: D3E1004C 1532ED62
	ds_read_b64 v[140:141], v19 offset:28416                   // 000000009254: D8EC6F00 8C000013
	ds_read_b64 v[142:143], v19 offset:30464                   // 00000000925C: D8EC7700 8E000013
	v_mfma_f32_16x16x16_bf16 v[76:79], v[100:101], a[120:121], v[76:79]// 000000009264: D3E1004C 1532F164
	v_exp_f32_e32 v52, v52                                     // 00000000926C: 7E684134
	v_mfma_f32_16x16x16_bf16 v[76:79], v[102:103], a[122:123], v[76:79]// 000000009270: D3E1004C 1532F566
	v_exp_f32_e32 v53, v53                                     // 000000009278: 7E6A4135
	v_mfma_f32_16x16x16_bf16 v[76:79], v[104:105], a[124:125], v[76:79]// 00000000927C: D3E1004C 1532F968
	v_exp_f32_e32 v54, v54                                     // 000000009284: 7E6C4136
	v_mfma_f32_16x16x16_bf16 v[76:79], v[106:107], a[126:127], v[76:79]// 000000009288: D3E1004C 1532FD6A
	v_exp_f32_e32 v55, v55                                     // 000000009290: 7E6E4137
	v_mfma_f32_16x16x16_bf16 v[80:83], v[92:93], a[128:129], 0 // 000000009294: D3E10050 1203015C
	v_exp_f32_e32 v56, v56                                     // 00000000929C: 7E704138
	v_mfma_f32_16x16x16_bf16 v[80:83], v[94:95], a[130:131], v[80:83]// 0000000092A0: D3E10050 1543055E
	v_exp_f32_e32 v57, v57                                     // 0000000092A8: 7E724139
	v_mfma_f32_16x16x16_bf16 v[80:83], v[96:97], a[132:133], v[80:83]// 0000000092AC: D3E10050 15430960
	v_exp_f32_e32 v58, v58                                     // 0000000092B4: 7E74413A
	v_mfma_f32_16x16x16_bf16 v[80:83], v[98:99], a[134:135], v[80:83]// 0000000092B8: D3E10050 15430D62
	v_exp_f32_e32 v59, v59                                     // 0000000092C0: 7E76413B
	v_mfma_f32_16x16x16_bf16 v[80:83], v[100:101], a[136:137], v[80:83]// 0000000092C4: D3E10050 15431164
	v_cmp_u_f32_e64 s[74:75], v48, v48                         // 0000000092CC: D048004A 00026130
	v_add3_u32 v248, v48, v251, 1                              // 0000000092D4: D1FF00F8 0207F730
	v_cndmask_b32_e64 v28, v248, v250, s[74:75]                // 0000000092DC: D100001C 012BF5F8
	v_cmp_u_f32_e64 s[74:75], v49, v49                         // 0000000092E4: D048004A 00026331
	v_add3_u32 v248, v49, v251, 1                              // 0000000092EC: D1FF00F8 0207F731
	v_cndmask_b32_e64 v29, v248, v250, s[74:75]                // 0000000092F4: D100001D 012BF5F8
	v_perm_b32 v144, v29, v28, s64                             // 0000000092FC: D1ED0090 0102391D
	v_cmp_u_f32_e64 s[74:75], v50, v50                         // 000000009304: D048004A 00026532
	v_add3_u32 v248, v50, v251, 1                              // 00000000930C: D1FF00F8 0207F732
	v_cndmask_b32_e64 v28, v248, v250, s[74:75]                // 000000009314: D100001C 012BF5F8
	v_cmp_u_f32_e64 s[74:75], v51, v51                         // 00000000931C: D048004A 00026733
	v_add3_u32 v248, v51, v251, 1                              // 000000009324: D1FF00F8 0207F733
	v_cndmask_b32_e64 v29, v248, v250, s[74:75]                // 00000000932C: D100001D 012BF5F8
	v_perm_b32 v145, v29, v28, s64                             // 000000009334: D1ED0091 0102391D
	v_cmp_u_f32_e64 s[74:75], v52, v52                         // 00000000933C: D048004A 00026934
	v_add3_u32 v248, v52, v251, 1                              // 000000009344: D1FF00F8 0207F734
	v_cndmask_b32_e64 v28, v248, v250, s[74:75]                // 00000000934C: D100001C 012BF5F8
	v_cmp_u_f32_e64 s[74:75], v53, v53                         // 000000009354: D048004A 00026B35
	v_add3_u32 v248, v53, v251, 1                              // 00000000935C: D1FF00F8 0207F735
	v_cndmask_b32_e64 v29, v248, v250, s[74:75]                // 000000009364: D100001D 012BF5F8
	v_perm_b32 v146, v29, v28, s64                             // 00000000936C: D1ED0092 0102391D
	v_mfma_f32_16x16x16_bf16 v[80:83], v[102:103], a[138:139], v[80:83]// 000000009374: D3E10050 15431566
	v_cmp_u_f32_e64 s[74:75], v54, v54                         // 00000000937C: D048004A 00026D36
	v_add3_u32 v248, v54, v251, 1                              // 000000009384: D1FF00F8 0207F736
	v_cndmask_b32_e64 v28, v248, v250, s[74:75]                // 00000000938C: D100001C 012BF5F8
	v_cmp_u_f32_e64 s[74:75], v55, v55                         // 000000009394: D048004A 00026F37
	v_add3_u32 v248, v55, v251, 1                              // 00000000939C: D1FF00F8 0207F737
	v_cndmask_b32_e64 v29, v248, v250, s[74:75]                // 0000000093A4: D100001D 012BF5F8
	v_perm_b32 v147, v29, v28, s64                             // 0000000093AC: D1ED0093 0102391D
	v_cmp_u_f32_e64 s[74:75], v56, v56                         // 0000000093B4: D048004A 00027138
	v_add3_u32 v248, v56, v251, 1                              // 0000000093BC: D1FF00F8 0207F738
	v_cndmask_b32_e64 v28, v248, v250, s[74:75]                // 0000000093C4: D100001C 012BF5F8
	v_cmp_u_f32_e64 s[74:75], v57, v57                         // 0000000093CC: D048004A 00027339
	v_add3_u32 v248, v57, v251, 1                              // 0000000093D4: D1FF00F8 0207F739
	v_cndmask_b32_e64 v29, v248, v250, s[74:75]                // 0000000093DC: D100001D 012BF5F8
	v_perm_b32 v148, v29, v28, s64                             // 0000000093E4: D1ED0094 0102391D
	v_cmp_u_f32_e64 s[74:75], v58, v58                         // 0000000093EC: D048004A 0002753A
	v_add3_u32 v248, v58, v251, 1                              // 0000000093F4: D1FF00F8 0207F73A
	v_cndmask_b32_e64 v28, v248, v250, s[74:75]                // 0000000093FC: D100001C 012BF5F8
	v_cmp_u_f32_e64 s[74:75], v59, v59                         // 000000009404: D048004A 0002773B
	v_add3_u32 v248, v59, v251, 1                              // 00000000940C: D1FF00F8 0207F73B
	v_cndmask_b32_e64 v29, v248, v250, s[74:75]                // 000000009414: D100001D 012BF5F8
	v_perm_b32 v149, v29, v28, s64                             // 00000000941C: D1ED0095 0102391D
	v_mfma_f32_16x16x16_bf16 v[80:83], v[104:105], a[140:141], v[80:83]// 000000009424: D3E10050 15431968
	v_add_u32_e32 v7, s66, v7                                  // 00000000942C: 680E0E42
	v_add_u32_e32 v8, s66, v8                                  // 000000009430: 68101042
	v_mfma_f32_16x16x16_bf16 v[80:83], v[106:107], a[142:143], v[80:83]// 000000009434: D3E10050 15431D6A
	s_waitcnt lgkmcnt(0)                                       // 00000000943C: BF8CC07F
	s_barrier                                                  // 000000009440: BF8A0000
	v_mfma_f32_16x16x16_bf16 v[152:155], v[108:109], v[144:145], v[152:155]// 000000009444: D3E10098 0663216C
	v_subrev_f32_dpp v72, v150, v72 quad_perm:[0,0,0,0] row_mask:0xf bank_mask:0xf// 00000000944C: 069090FA FF000096
	v_subrev_f32_dpp v73, v150, v73 quad_perm:[1,1,1,1] row_mask:0xf bank_mask:0xf// 000000009454: 069292FA FF005596
	v_subrev_f32_dpp v74, v150, v74 quad_perm:[2,2,2,2] row_mask:0xf bank_mask:0xf// 00000000945C: 069494FA FF00AA96
	v_mfma_f32_16x16x16_bf16 v[156:159], v[110:111], v[144:145], v[156:159]// 000000009464: D3E1009C 0673216E
	v_subrev_f32_dpp v75, v150, v75 quad_perm:[3,3,3,3] row_mask:0xf bank_mask:0xf// 00000000946C: 069696FA FF00FF96
	v_subrev_f32_dpp v76, v150, v76 quad_perm:[0,0,0,0] row_mask:0xf bank_mask:0xf// 000000009474: 069898FA FF000096
	v_subrev_f32_dpp v77, v150, v77 quad_perm:[1,1,1,1] row_mask:0xf bank_mask:0xf// 00000000947C: 069A9AFA FF005596
	v_mfma_f32_16x16x16_bf16 v[160:163], v[112:113], v[144:145], v[160:163]// 000000009484: D3E100A0 06832170
	v_mul_f32_e32 v72, v48, v72                                // 00000000948C: 0A909130
	v_mul_f32_e32 v73, v49, v73                                // 000000009490: 0A929331
	v_mul_f32_e32 v74, v50, v74                                // 000000009494: 0A949532
	v_mfma_f32_16x16x16_bf16 v[164:167], v[114:115], v[144:145], v[164:167]// 000000009498: D3E100A4 06932172
	v_mul_f32_e32 v75, v51, v75                                // 0000000094A0: 0A969733
	v_mul_f32_e32 v76, v52, v76                                // 0000000094A4: 0A989934
	v_mul_f32_e32 v77, v53, v77                                // 0000000094A8: 0A9A9B35
	v_mfma_f32_16x16x16_bf16 v[168:171], v[116:117], v[144:145], v[168:171]// 0000000094AC: D3E100A8 06A32174
	v_cmp_u_f32_e64 s[74:75], v72, v72                         // 0000000094B4: D048004A 00029148
	v_add3_u32 v248, v72, v251, 1                              // 0000000094BC: D1FF00F8 0207F748
	v_cndmask_b32_e64 v28, v248, v250, s[74:75]                // 0000000094C4: D100001C 012BF5F8
	v_cmp_u_f32_e64 s[74:75], v73, v73                         // 0000000094CC: D048004A 00029349
	v_add3_u32 v248, v73, v251, 1                              // 0000000094D4: D1FF00F8 0207F749
	v_cndmask_b32_e64 v29, v248, v250, s[74:75]                // 0000000094DC: D100001D 012BF5F8
	v_perm_b32 v72, v29, v28, s64                              // 0000000094E4: D1ED0048 0102391D
	v_cmp_u_f32_e64 s[74:75], v74, v74                         // 0000000094EC: D048004A 0002954A
	v_add3_u32 v248, v74, v251, 1                              // 0000000094F4: D1FF00F8 0207F74A
	v_cndmask_b32_e64 v28, v248, v250, s[74:75]                // 0000000094FC: D100001C 012BF5F8
	v_cmp_u_f32_e64 s[74:75], v75, v75                         // 000000009504: D048004A 0002974B
	v_add3_u32 v248, v75, v251, 1                              // 00000000950C: D1FF00F8 0207F74B
	v_cndmask_b32_e64 v29, v248, v250, s[74:75]                // 000000009514: D100001D 012BF5F8
	v_perm_b32 v73, v29, v28, s64                              // 00000000951C: D1ED0049 0102391D
	v_cmp_u_f32_e64 s[74:75], v76, v76                         // 000000009524: D048004A 0002994C
	v_add3_u32 v248, v76, v251, 1                              // 00000000952C: D1FF00F8 0207F74C
	v_cndmask_b32_e64 v28, v248, v250, s[74:75]                // 000000009534: D100001C 012BF5F8
	v_cmp_u_f32_e64 s[74:75], v77, v77                         // 00000000953C: D048004A 00029B4D
	v_add3_u32 v248, v77, v251, 1                              // 000000009544: D1FF00F8 0207F74D
	v_cndmask_b32_e64 v29, v248, v250, s[74:75]                // 00000000954C: D100001D 012BF5F8
	v_perm_b32 v74, v29, v28, s64                              // 000000009554: D1ED004A 0102391D
	v_mfma_f32_16x16x16_bf16 v[172:175], v[118:119], v[144:145], v[172:175]// 00000000955C: D3E100AC 06B32176
	v_mov_b32_dpp v16, v72 quad_perm:[1,0,3,2] row_mask:0xf bank_mask:0xf// 000000009564: 7E2002FA FF00B148
	v_perm_b32 v48, v16, v72, v15                              // 00000000956C: D1ED0030 043E9110
	v_mov_b32_dpp v16, v73 quad_perm:[1,0,3,2] row_mask:0xf bank_mask:0xf// 000000009574: 7E2002FA FF00B149
	v_mfma_f32_16x16x16_bf16 v[176:179], v[120:121], v[144:145], v[176:179]// 00000000957C: D3E100B0 06C32178
	ds_write_b32 v18, v48 offset:17408                         // 000000009584: D81A4400 00003012
	v_mfma_f32_16x16x16_bf16 v[180:183], v[122:123], v[144:145], v[180:183]// 00000000958C: D3E100B4 06D3217A
	v_perm_b32 v49, v16, v73, v15                              // 000000009594: D1ED0031 043E9310
	v_mov_b32_dpp v16, v74 quad_perm:[1,0,3,2] row_mask:0xf bank_mask:0xf// 00000000959C: 7E2002FA FF00B14A
	v_perm_b32 v50, v16, v74, v15                              // 0000000095A4: D1ED0032 043E9510
	v_mfma_f32_16x16x16_bf16 v[184:187], v[108:109], v[146:147], v[184:187]// 0000000095AC: D3E100B8 06E3256C
	ds_write_b32 v18, v49 offset:17952                         // 0000000095B4: D81A4620 00003112
	v_mfma_f32_16x16x16_bf16 v[188:191], v[110:111], v[146:147], v[188:191]// 0000000095BC: D3E100BC 06F3256E
	v_subrev_f32_dpp v78, v150, v78 quad_perm:[2,2,2,2] row_mask:0xf bank_mask:0xf// 0000000095C4: 069C9CFA FF00AA96
	v_subrev_f32_dpp v79, v150, v79 quad_perm:[3,3,3,3] row_mask:0xf bank_mask:0xf// 0000000095CC: 069E9EFA FF00FF96
	v_subrev_f32_dpp v80, v150, v80 quad_perm:[0,0,0,0] row_mask:0xf bank_mask:0xf// 0000000095D4: 06A0A0FA FF000096
	v_mfma_f32_16x16x16_bf16 v[192:195], v[112:113], v[146:147], v[192:195]// 0000000095DC: D3E100C0 07032570
	ds_write_b32 v18, v50 offset:19712                         // 0000000095E4: D81A4D00 00003212
	v_mfma_f32_16x16x16_bf16 v[196:199], v[114:115], v[146:147], v[196:199]// 0000000095EC: D3E100C4 07132572
	v_subrev_f32_dpp v81, v150, v81 quad_perm:[1,1,1,1] row_mask:0xf bank_mask:0xf// 0000000095F4: 06A2A2FA FF005596
	v_subrev_f32_dpp v82, v150, v82 quad_perm:[2,2,2,2] row_mask:0xf bank_mask:0xf// 0000000095FC: 06A4A4FA FF00AA96
	v_subrev_f32_dpp v83, v150, v83 quad_perm:[3,3,3,3] row_mask:0xf bank_mask:0xf// 000000009604: 06A6A6FA FF00FF96
	v_mfma_f32_16x16x16_bf16 v[200:203], v[116:117], v[146:147], v[200:203]// 00000000960C: D3E100C8 07232574
	v_mul_f32_e32 v78, v54, v78                                // 000000009614: 0A9C9D36
	v_mul_f32_e32 v79, v55, v79                                // 000000009618: 0A9E9F37
	v_mul_f32_e32 v80, v56, v80                                // 00000000961C: 0AA0A138
	v_mfma_f32_16x16x16_bf16 v[204:207], v[118:119], v[146:147], v[204:207]// 000000009620: D3E100CC 07332576
	v_mul_f32_e32 v81, v57, v81                                // 000000009628: 0AA2A339
	v_mul_f32_e32 v82, v58, v82                                // 00000000962C: 0AA4A53A
	v_mul_f32_e32 v83, v59, v83                                // 000000009630: 0AA6A73B
	v_mfma_f32_16x16x16_bf16 v[208:211], v[120:121], v[146:147], v[208:211]// 000000009634: D3E100D0 07432578
	v_cmp_u_f32_e64 s[74:75], v78, v78                         // 00000000963C: D048004A 00029D4E
	v_add3_u32 v248, v78, v251, 1                              // 000000009644: D1FF00F8 0207F74E
	v_cndmask_b32_e64 v28, v248, v250, s[74:75]                // 00000000964C: D100001C 012BF5F8
	v_cmp_u_f32_e64 s[74:75], v79, v79                         // 000000009654: D048004A 00029F4F
	v_add3_u32 v248, v79, v251, 1                              // 00000000965C: D1FF00F8 0207F74F
	v_cndmask_b32_e64 v29, v248, v250, s[74:75]                // 000000009664: D100001D 012BF5F8
	v_perm_b32 v75, v29, v28, s64                              // 00000000966C: D1ED004B 0102391D
	v_cmp_u_f32_e64 s[74:75], v80, v80                         // 000000009674: D048004A 0002A150
	v_add3_u32 v248, v80, v251, 1                              // 00000000967C: D1FF00F8 0207F750
	v_cndmask_b32_e64 v28, v248, v250, s[74:75]                // 000000009684: D100001C 012BF5F8
	v_cmp_u_f32_e64 s[74:75], v81, v81                         // 00000000968C: D048004A 0002A351
	v_add3_u32 v248, v81, v251, 1                              // 000000009694: D1FF00F8 0207F751
	v_cndmask_b32_e64 v29, v248, v250, s[74:75]                // 00000000969C: D100001D 012BF5F8
	v_perm_b32 v76, v29, v28, s64                              // 0000000096A4: D1ED004C 0102391D
	v_cmp_u_f32_e64 s[74:75], v82, v82                         // 0000000096AC: D048004A 0002A552
	v_add3_u32 v248, v82, v251, 1                              // 0000000096B4: D1FF00F8 0207F752
	v_cndmask_b32_e64 v28, v248, v250, s[74:75]                // 0000000096BC: D100001C 012BF5F8
	v_cmp_u_f32_e64 s[74:75], v83, v83                         // 0000000096C4: D048004A 0002A753
	v_add3_u32 v248, v83, v251, 1                              // 0000000096CC: D1FF00F8 0207F753
	v_cndmask_b32_e64 v29, v248, v250, s[74:75]                // 0000000096D4: D100001D 012BF5F8
	v_perm_b32 v77, v29, v28, s64                              // 0000000096DC: D1ED004D 0102391D
	v_mfma_f32_16x16x16_bf16 v[212:215], v[122:123], v[146:147], v[212:215]// 0000000096E4: D3E100D4 0753257A
	v_mov_b32_dpp v16, v75 quad_perm:[1,0,3,2] row_mask:0xf bank_mask:0xf// 0000000096EC: 7E2002FA FF00B14B
	v_perm_b32 v51, v16, v75, v15                              // 0000000096F4: D1ED0033 043E9710
	v_mov_b32_dpp v16, v76 quad_perm:[1,0,3,2] row_mask:0xf bank_mask:0xf// 0000000096FC: 7E2002FA FF00B14C
	v_mfma_f32_16x16x16_bf16 v[216:219], v[108:109], v[148:149], v[216:219]// 000000009704: D3E100D8 0763296C
	ds_write_b32 v18, v51 offset:20256                         // 00000000970C: D81A4F20 00003312
	v_mfma_f32_16x16x16_bf16 v[220:223], v[110:111], v[148:149], v[220:223]// 000000009714: D3E100DC 0773296E
	v_perm_b32 v52, v16, v76, v15                              // 00000000971C: D1ED0034 043E9910
	v_mov_b32_dpp v16, v77 quad_perm:[1,0,3,2] row_mask:0xf bank_mask:0xf// 000000009724: 7E2002FA FF00B14D
	v_perm_b32 v53, v16, v77, v15                              // 00000000972C: D1ED0035 043E9B10
	v_mfma_f32_16x16x16_bf16 v[224:227], v[112:113], v[148:149], v[224:227]// 000000009734: D3E100E0 07832970
	ds_write_b32 v18, v52 offset:22016                         // 00000000973C: D81A5600 00003412
	ds_write_b32 v18, v53 offset:22560                         // 000000009744: D81A5820 00003512
	v_mfma_f32_16x16x16_bf16 v[228:231], v[114:115], v[148:149], v[228:231]// 00000000974C: D3E100E4 07932972
	v_mfma_f32_16x16x16_bf16 v[232:235], v[116:117], v[148:149], v[232:235]// 000000009754: D3E100E8 07A32974
	ds_write_b32 v13, v84 offset:4352                          // 00000000975C: D81A1100 0000540D
	ds_write_b32 v13, v85 offset:5408                          // 000000009764: D81A1520 0000550D
	v_mfma_f32_16x16x16_bf16 v[236:239], v[118:119], v[148:149], v[236:239]// 00000000976C: D3E100EC 07B32976
	v_mfma_f32_16x16x16_bf16 v[240:243], v[120:121], v[148:149], v[240:243]// 000000009774: D3E100F0 07C32978
	ds_write_b32 v13, v86 offset:4480                          // 00000000977C: D81A1180 0000560D
	ds_write_b32 v13, v87 offset:5536                          // 000000009784: D81A15A0 0000570D
	v_mfma_f32_16x16x16_bf16 v[244:247], v[122:123], v[148:149], v[244:247]// 00000000978C: D3E100F4 07D3297A
	s_nop 0                                                    // 000000009794: BF800000
	s_nop 0                                                    // 000000009798: BF800000
	s_nop 0                                                    // 00000000979C: BF800000
	s_barrier                                                  // 0000000097A0: BF8A0000
	v_mfma_f32_16x16x16_bf16 a[160:163], a[144:145], v[72:73], a[160:163]// 0000000097A4: D3E180A0 0E829190
	ds_read_b32 v124, v21 offset:51200                         // 0000000097AC: D86CC800 7C000015
	ds_read_b32 v150, v21 offset:51456                         // 0000000097B4: D86CC900 96000015
	v_mfma_f32_16x16x16_bf16 a[164:167], a[146:147], v[72:73], a[164:167]// 0000000097BC: D3E180A4 0E929192
	buffer_atomic_add_f32 v136, v7, s[32:35], 0 offen          // 0000000097C4: E1341000 80088807
	v_mfma_f32_16x16x16_bf16 a[168:171], a[148:149], v[72:73], a[168:171]// 0000000097CC: D3E180A8 0EA29194
	s_waitcnt lgkmcnt(6)                                       // 0000000097D4: BF8CC67F
	s_barrier                                                  // 0000000097D8: BF8A0000
	v_mfma_f32_16x16x16_bf16 a[172:175], a[150:151], v[72:73], a[172:175]// 0000000097DC: D3E180AC 0EB29196
	v_mfma_f32_16x16x16_bf16 a[176:179], a[152:153], v[72:73], a[176:179]// 0000000097E4: D3E180B0 0EC29198
	ds_read_b128 v[48:51], v17 offset:17408                    // 0000000097EC: D9FE4400 30000011
	v_mfma_f32_16x16x16_bf16 a[180:183], a[154:155], v[72:73], a[180:183]// 0000000097F4: D3E180B4 0ED2919A
	v_mfma_f32_16x16x16_bf16 a[184:187], a[156:157], v[72:73], a[184:187]// 0000000097FC: D3E180B8 0EE2919C
	ds_read_b128 v[52:55], v17 offset:18560                    // 000000009804: D9FE4880 34000011
	v_mfma_f32_16x16x16_bf16 a[188:191], a[158:159], v[72:73], a[188:191]// 00000000980C: D3E180BC 0EF2919E
	buffer_atomic_add_f32 v137, v8, s[32:35], 0 offen          // 000000009814: E1341000 80088908
	v_mfma_f32_16x16x16_bf16 a[192:195], a[144:145], v[74:75], a[192:195]// 00000000981C: D3E180C0 0F029590
	ds_read_b128 v[56:59], v17 offset:19712                    // 000000009824: D9FE4D00 38000011
	v_mfma_f32_16x16x16_bf16 a[196:199], a[146:147], v[74:75], a[196:199]// 00000000982C: D3E180C4 0F129592
	v_mfma_f32_16x16x16_bf16 a[200:203], a[148:149], v[74:75], a[200:203]// 000000009834: D3E180C8 0F229594
	ds_read_b128 v[60:63], v17 offset:20864                    // 00000000983C: D9FE5180 3C000011
	v_mfma_f32_16x16x16_bf16 a[204:207], a[150:151], v[74:75], a[204:207]// 000000009844: D3E180CC 0F329596
	v_mfma_f32_16x16x16_bf16 a[208:211], a[152:153], v[74:75], a[208:211]// 00000000984C: D3E180D0 0F429598
	ds_read_b128 v[64:67], v17 offset:22016                    // 000000009854: D9FE5600 40000011
	v_mfma_f32_16x16x16_bf16 a[212:215], a[154:155], v[74:75], a[212:215]// 00000000985C: D3E180D4 0F52959A
	buffer_atomic_add_f32 v138, v7, s[32:35], 0 offen offset:128// 000000009864: E1341080 80088A07
	v_mfma_f32_16x16x16_bf16 a[216:219], a[156:157], v[74:75], a[216:219]// 00000000986C: D3E180D8 0F62959C
	ds_read_b128 v[68:71], v17 offset:23168                    // 000000009874: D9FE5A80 44000011
	v_mfma_f32_16x16x16_bf16 a[220:223], a[158:159], v[74:75], a[220:223]// 00000000987C: D3E180DC 0F72959E
	v_mfma_f32_16x16x16_bf16 a[224:227], a[144:145], v[76:77], a[224:227]// 000000009884: D3E180E0 0F829990
	ds_write_b32 v13, v88 offset:13056                         // 00000000988C: D81A3300 0000580D
	v_mfma_f32_16x16x16_bf16 a[228:231], a[146:147], v[76:77], a[228:231]// 000000009894: D3E180E4 0F929992
	v_mfma_f32_16x16x16_bf16 a[232:235], a[148:149], v[76:77], a[232:235]// 00000000989C: D3E180E8 0FA29994
	ds_write_b32 v13, v89 offset:14112                         // 0000000098A4: D81A3720 0000590D
	v_mfma_f32_16x16x16_bf16 a[236:239], a[150:151], v[76:77], a[236:239]// 0000000098AC: D3E180EC 0FB29996
	buffer_atomic_add_f32 v139, v8, s[32:35], 0 offen offset:128// 0000000098B4: E1341080 80088B08
	v_mfma_f32_16x16x16_bf16 a[240:243], a[152:153], v[76:77], a[240:243]// 0000000098BC: D3E180F0 0FC29998
	ds_write_b32 v13, v90 offset:13184                         // 0000000098C4: D81A3380 00005A0D
	v_mfma_f32_16x16x16_bf16 a[244:247], a[154:155], v[76:77], a[244:247]// 0000000098CC: D3E180F4 0FD2999A
	v_mfma_f32_16x16x16_bf16 a[248:251], a[156:157], v[76:77], a[248:251]// 0000000098D4: D3E180F8 0FE2999C
	ds_write_b32 v13, v91 offset:14240                         // 0000000098DC: D81A37A0 00005B0D
	v_mfma_f32_16x16x16_bf16 a[252:255], a[158:159], v[76:77], a[252:255]// 0000000098E4: D3E180FC 0FF2999E
	s_waitcnt vmcnt(8) lgkmcnt(4)                              // 0000000098EC: BF8C0478
	s_barrier                                                  // 0000000098F0: BF8A0000
	v_mfma_f32_16x16x16_bf16 v[128:131], v[48:49], a[48:49], 0 // 0000000098F4: D3E10080 12026130
	ds_read_b128 a[144:147], v10                               // 0000000098FC: DBFE0000 9000000A
	v_mov_b32_e32 v36, 0                                       // 000000009904: 7E480280
	s_mov_b64 exec, s[88:89]                                   // 000000009908: BEFE0158
	buffer_load_dword v36, v1, s[8:11], 0 idxen                // 00000000990C: E0502000 80022401
	s_mov_b64 exec, s[86:87]                                   // 000000009914: BEFE0156
	v_mfma_f32_16x16x16_bf16 v[128:131], v[50:51], a[52:53], v[128:131]// 000000009918: D3E10080 16026932
	v_cmp_eq_u32_e32 vcc, v124, v151                           // 000000009920: 7D952F7C
	v_mov_b32_e32 v28, 0                                       // 000000009924: 7E380280
	v_cndmask_b32_e32 v124, v124, v28, vcc                     // 000000009928: 00F8397C
	v_mul_f32_e32 v124, s48, v124                              // 00000000992C: 0AF8F830
	s_nop 0                                                    // 000000009930: BF800000
	v_mfma_f32_16x16x16_bf16 v[128:131], v[52:53], a[56:57], v[128:131]// 000000009934: D3E10080 16027134
	ds_read_b128 a[148:151], v10 offset:512                    // 00000000993C: DBFE0200 9400000A
	v_mov_b32_e32 v37, 0                                       // 000000009944: 7E4A0280
	s_mov_b64 exec, s[88:89]                                   // 000000009948: BEFE0158
	buffer_load_dword v37, v2, s[8:11], 0 idxen                // 00000000994C: E0502000 80022502
	s_mov_b64 exec, s[86:87]                                   // 000000009954: BEFE0156
	v_mfma_f32_16x16x16_bf16 v[128:131], v[54:55], a[60:61], v[128:131]// 000000009958: D3E10080 16027936
	v_mfma_f32_16x16x16_bf16 v[128:131], v[56:57], a[64:65], v[128:131]// 000000009960: D3E10080 16028138
	ds_read_b128 a[152:155], v10 offset:2176                   // 000000009968: DBFE0880 9800000A
	v_mov_b32_e32 v38, 0                                       // 000000009970: 7E4C0280
	s_mov_b64 exec, s[88:89]                                   // 000000009974: BEFE0158
	buffer_load_dword v38, v3, s[8:11], 0 idxen                // 000000009978: E0502000 80022603
	s_mov_b64 exec, s[86:87]                                   // 000000009980: BEFE0156
	v_mfma_f32_16x16x16_bf16 v[128:131], v[58:59], a[68:69], v[128:131]// 000000009984: D3E10080 1602893A
	v_perm_b32 v84, v33, v32, s63                              // 00000000998C: D1ED0054 00FE4121
	v_perm_b32 v85, v33, v32, s64                              // 000000009994: D1ED0055 01024121
	v_mfma_f32_16x16x16_bf16 v[128:131], v[60:61], a[72:73], v[128:131]// 00000000999C: D3E10080 1602913C
	ds_read_b128 a[156:159], v10 offset:2688                   // 0000000099A4: DBFE0A80 9C00000A
	v_mov_b32_e32 v39, 0                                       // 0000000099AC: 7E4E0280
	s_mov_b64 exec, s[88:89]                                   // 0000000099B0: BEFE0158
	buffer_load_dword v39, v4, s[8:11], 0 idxen                // 0000000099B4: E0502000 80022704
	s_mov_b64 exec, s[86:87]                                   // 0000000099BC: BEFE0156
	v_mfma_f32_16x16x16_bf16 v[128:131], v[62:63], a[76:77], v[128:131]// 0000000099C0: D3E10080 1602993E
	v_perm_b32 v86, v35, v34, s63                              // 0000000099C8: D1ED0056 00FE4523
	v_perm_b32 v87, v35, v34, s64                              // 0000000099D0: D1ED0057 01024523
	v_mfma_f32_16x16x16_bf16 v[128:131], v[64:65], a[80:81], v[128:131]// 0000000099D8: D3E10080 1602A140
	ds_read_b128 v[92:95], v10 offset:8704                     // 0000000099E0: D9FE2200 5C00000A
	v_mov_b32_e32 v44, 0                                       // 0000000099E8: 7E580280
	s_mov_b64 exec, s[88:89]                                   // 0000000099EC: BEFE0158
	buffer_load_dword v44, v252, s[20:23], 0 idxen             // 0000000099F0: E0502000 80052CFC
	s_mov_b64 exec, s[86:87]                                   // 0000000099F8: BEFE0156
	v_mfma_f32_16x16x16_bf16 v[128:131], v[66:67], a[84:85], v[128:131]// 0000000099FC: D3E10080 1602A942
	v_perm_b32 v88, v41, v40, s63                              // 000000009A04: D1ED0058 00FE5129
	v_perm_b32 v89, v41, v40, s64                              // 000000009A0C: D1ED0059 01025129
	v_mfma_f32_16x16x16_bf16 v[128:131], v[68:69], a[88:89], v[128:131]// 000000009A14: D3E10080 1602B144
	ds_read_b128 v[96:99], v10 offset:9216                     // 000000009A1C: D9FE2400 6000000A
	v_mov_b32_e32 v45, 0                                       // 000000009A24: 7E5A0280
	s_mov_b64 exec, s[88:89]                                   // 000000009A28: BEFE0158
	buffer_load_dword v45, v253, s[20:23], 0 idxen             // 000000009A2C: E0502000 80052DFD
	s_mov_b64 exec, s[86:87]                                   // 000000009A34: BEFE0156
	v_mfma_f32_16x16x16_bf16 v[128:131], v[70:71], a[92:93], v[128:131]// 000000009A38: D3E10080 1602B946
	v_perm_b32 v90, v43, v42, s63                              // 000000009A40: D1ED005A 00FE552B
	v_perm_b32 v91, v43, v42, s64                              // 000000009A48: D1ED005B 0102552B
	v_mfma_f32_16x16x16_bf16 v[132:135], v[48:49], a[50:51], 0 // 000000009A50: D3E10084 12026530
	ds_read_b128 v[100:103], v10 offset:10880                  // 000000009A58: D9FE2A80 6400000A
	v_mov_b32_e32 v46, 0                                       // 000000009A60: 7E5C0280
	s_mov_b64 exec, s[88:89]                                   // 000000009A64: BEFE0158
	buffer_load_dword v46, v254, s[20:23], 0 idxen             // 000000009A68: E0502000 80052EFE
	s_mov_b64 exec, s[86:87]                                   // 000000009A70: BEFE0156
	v_mfma_f32_16x16x16_bf16 v[132:135], v[50:51], a[54:55], v[132:135]// 000000009A74: D3E10084 16126D32
	v_mov_b32_dpp v127, v124 quad_perm:[3,3,3,3] row_mask:0xf bank_mask:0xf// 000000009A7C: 7EFE02FA FF00FF7C
	v_mov_b32_dpp v126, v124 quad_perm:[2,2,2,2] row_mask:0xf bank_mask:0xf// 000000009A84: 7EFC02FA FF00AA7C
	v_mfma_f32_16x16x16_bf16 v[132:135], v[52:53], a[58:59], v[132:135]// 000000009A8C: D3E10084 16127534
	ds_read_b128 v[104:107], v10 offset:11392                  // 000000009A94: D9FE2C80 6800000A
	v_mov_b32_e32 v47, 0                                       // 000000009A9C: 7E5E0280
	s_mov_b64 exec, s[88:89]                                   // 000000009AA0: BEFE0158
	buffer_load_dword v47, v255, s[20:23], 0 idxen             // 000000009AA4: E0502000 80052FFF
	s_mov_b64 exec, s[86:87]                                   // 000000009AAC: BEFE0156
	v_mfma_f32_16x16x16_bf16 v[132:135], v[54:55], a[62:63], v[132:135]// 000000009AB0: D3E10084 16127D36
	v_mov_b32_dpp v125, v124 quad_perm:[1,1,1,1] row_mask:0xf bank_mask:0xf// 000000009AB8: 7EFA02FA FF00557C
	v_mov_b32_dpp v124, v124 quad_perm:[0,0,0,0] row_mask:0xf bank_mask:0xf// 000000009AC0: 7EF802FA FF00007C
	s_add_u32 s60, 64, s59                                     // 000000009AC8: 803C3BC0
	v_mfma_f32_16x16x16_bf16 v[132:135], v[56:57], a[66:67], v[132:135]// 000000009ACC: D3E10084 16128538
	buffer_load_dword v9, s[24:27], 0 idxen lds                // 000000009AD4: E0512000 80060009
	v_mfma_f32_16x16x16_bf16 v[132:135], v[58:59], a[70:71], v[132:135]// 000000009ADC: D3E10084 16128D3A
	s_cmp_lt_u32 s60, s58                                      // 000000009AE4: BF0A3A3C
	s_cselect_b32 s68, s68, 0                                  // 000000009AE8: 85448044
	s_cselect_b32 s97, s97, 0                                  // 000000009AEC: 85618061
	s_cselect_b32 s69, s69, 0                                  // 000000009AF0: 85458045
	v_mfma_f32_16x16x16_bf16 v[132:135], v[60:61], a[74:75], v[132:135]// 000000009AF4: D3E10084 1612953C
	v_add_u32_e32 v1, s68, v1                                  // 000000009AFC: 68020244
	v_add_u32_e32 v2, s68, v2                                  // 000000009B00: 68040444
	v_add_u32_e32 v3, s68, v3                                  // 000000009B04: 68060644
	v_add_u32_e32 v4, s68, v4                                  // 000000009B08: 68080844
	v_mfma_f32_16x16x16_bf16 v[132:135], v[62:63], a[78:79], v[132:135]// 000000009B0C: D3E10084 16129D3E
	v_add_u32_e32 v252, s97, v252                              // 000000009B14: 69F9F861
	v_add_u32_e32 v253, s97, v253                              // 000000009B18: 69FBFA61
	v_add_u32_e32 v254, s97, v254                              // 000000009B1C: 69FDFC61
	v_add_u32_e32 v255, s97, v255                              // 000000009B20: 69FFFE61
	v_mfma_f32_16x16x16_bf16 v[132:135], v[64:65], a[82:83], v[132:135]// 000000009B24: D3E10084 1612A540
	s_mov_b32 m0, s76                                          // 000000009B2C: BEFC004C
	v_add_u32_e32 v9, s69, v9                                  // 000000009B30: 68121245
	v_mfma_f32_16x16x16_bf16 v[132:135], v[66:67], a[86:87], v[132:135]// 000000009B34: D3E10084 1612AD42
	s_cmp_ge_u32 s59, s101                                     // 000000009B3C: BF09653B
	s_cselect_b32 s66, s67, s66                                // 000000009B40: 85424243
	v_mfma_f32_16x16x16_bf16 v[132:135], v[68:69], a[90:91], v[132:135]// 000000009B44: D3E10084 1612B544
	s_addk_i32 s59, 0x10                                       // 000000009B4C: B73B0010
	s_nop 0                                                    // 000000009B50: BF800000
	s_cmp_lt_i32 s59, s58                                      // 000000009B54: BF043A3B
	v_mfma_f32_16x16x16_bf16 v[132:135], v[70:71], a[94:95], v[132:135]// 000000009B58: D3E10084 1612BD46
	s_cbranch_scc0 label_12E9                                  // 000000009B60: BF84FB84
	s_waitcnt lgkmcnt(0)                                       // 000000009B64: BF8CC07F
	s_barrier                                                  // 000000009B68: BF8A0000
	v_mfma_f32_16x16x16_bf16 v[48:51], a[144:145], a[0:1], 0   // 000000009B6C: D3E10030 1A020190
	v_mul_f32_e32 v128, s47, v128                              // 000000009B74: 0B01002F
	v_mul_f32_e32 v129, s47, v129                              // 000000009B78: 0B03022F
	v_mfma_f32_16x16x16_bf16 v[48:51], a[146:147], a[2:3], v[48:51]// 000000009B7C: D3E10030 1CC20592
	ds_write_b32 v11, v40 offset:8704                          // 000000009B84: D81A2200 0000280B
	ds_write_b32 v11, v41 offset:9760                          // 000000009B8C: D81A2620 0000290B
	v_mfma_f32_16x16x16_bf16 v[48:51], a[148:149], a[4:5], v[48:51]// 000000009B94: D3E10030 1CC20994
	v_mul_f32_e32 v130, s47, v130                              // 000000009B9C: 0B05042F
	v_mul_f32_e32 v131, s47, v131                              // 000000009BA0: 0B07062F
	v_mfma_f32_16x16x16_bf16 v[48:51], a[150:151], a[6:7], v[48:51]// 000000009BA4: D3E10030 1CC20D96
	ds_write_b32 v11, v42 offset:8832                          // 000000009BAC: D81A2280 00002A0B
	ds_write_b32 v11, v43 offset:9888                          // 000000009BB4: D81A26A0 00002B0B
	v_mfma_f32_16x16x16_bf16 v[48:51], a[152:153], a[8:9], v[48:51]// 000000009BBC: D3E10030 1CC21198
	v_mul_f32_e32 v132, s47, v132                              // 000000009BC4: 0B09082F
	v_mul_f32_e32 v133, s47, v133                              // 000000009BC8: 0B0B0A2F
	v_mfma_f32_16x16x16_bf16 v[48:51], a[154:155], a[10:11], v[48:51]// 000000009BCC: D3E10030 1CC2159A
	ds_write_b64 v20, v[128:129] offset:24320                  // 000000009BD4: D89A5F00 00008014
	v_mfma_f32_16x16x16_bf16 v[48:51], a[156:157], a[12:13], v[48:51]// 000000009BDC: D3E10030 1CC2199C
	v_mul_f32_e32 v134, s47, v134                              // 000000009BE4: 0B0D0C2F
	v_mul_f32_e32 v135, s47, v135                              // 000000009BE8: 0B0F0E2F
	v_mfma_f32_16x16x16_bf16 v[48:51], a[158:159], a[14:15], v[48:51]// 000000009BEC: D3E10030 1CC21D9E
	ds_write_b64 v20, v[130:131] offset:24832                  // 000000009BF4: D89A6100 00008214
	v_mfma_f32_16x16x16_bf16 v[52:55], a[144:145], a[16:17], 0 // 000000009BFC: D3E10034 1A022190
	buffer_atomic_add_f32 v140, v7, s[32:35], 0 offen offset:256// 000000009C04: E1341100 80088C07
	v_mfma_f32_16x16x16_bf16 v[52:55], a[146:147], a[18:19], v[52:55]// 000000009C0C: D3E10034 1CD22592
	ds_write_b64 v20, v[132:133] offset:25344                  // 000000009C14: D89A6300 00008414
	v_mfma_f32_16x16x16_bf16 v[52:55], a[148:149], a[20:21], v[52:55]// 000000009C1C: D3E10034 1CD22994
	v_mfma_f32_16x16x16_bf16 v[52:55], a[150:151], a[22:23], v[52:55]// 000000009C24: D3E10034 1CD22D96
	ds_write_b64 v20, v[134:135] offset:25856                  // 000000009C2C: D89A6500 00008614
	v_mfma_f32_16x16x16_bf16 v[52:55], a[152:153], a[24:25], v[52:55]// 000000009C34: D3E10034 1CD23198
	buffer_atomic_add_f32 v141, v8, s[32:35], 0 offen offset:256// 000000009C3C: E1341100 80088D08
	v_mfma_f32_16x16x16_bf16 v[52:55], a[154:155], a[26:27], v[52:55]// 000000009C44: D3E10034 1CD2359A
	ds_read_b128 v[108:111], v12 offset:13056                  // 000000009C4C: D9FE3300 6C00000C
	ds_write_b32 v11, v32                                      // 000000009C54: D81A0000 0000200B
	v_mfma_f32_16x16x16_bf16 v[52:55], a[156:157], a[28:29], v[52:55]// 000000009C5C: D3E10034 1CD2399C
	v_mfma_f32_16x16x16_bf16 v[52:55], a[158:159], a[30:31], v[52:55]// 000000009C64: D3E10034 1CD23D9E
	v_mfma_f32_16x16x16_bf16 v[56:59], a[144:145], a[32:33], 0 // 000000009C6C: D3E10038 1A024190
	ds_read_b128 v[112:115], v12 offset:13568                  // 000000009C74: D9FE3500 7000000C
	ds_write_b32 v11, v33 offset:1056                          // 000000009C7C: D81A0420 0000210B
	v_mfma_f32_16x16x16_bf16 v[56:59], a[146:147], a[34:35], v[56:59]// 000000009C84: D3E10038 1CE24592
	buffer_atomic_add_f32 v142, v7, s[32:35], 0 offen offset:384// 000000009C8C: E1341180 80088E07
	v_mfma_f32_16x16x16_bf16 v[56:59], a[148:149], a[36:37], v[56:59]// 000000009C94: D3E10038 1CE24994
	v_mfma_f32_16x16x16_bf16 v[56:59], a[150:151], a[38:39], v[56:59]// 000000009C9C: D3E10038 1CE24D96
	ds_read_b128 v[116:119], v12 offset:15232                  // 000000009CA4: D9FE3B80 7400000C
	ds_write_b32 v11, v34 offset:128                           // 000000009CAC: D81A0080 0000220B
	v_mfma_f32_16x16x16_bf16 v[56:59], a[152:153], a[40:41], v[56:59]// 000000009CB4: D3E10038 1CE25198
	v_mfma_f32_16x16x16_bf16 v[56:59], a[154:155], a[42:43], v[56:59]// 000000009CBC: D3E10038 1CE2559A
	buffer_atomic_add_f32 v143, v8, s[32:35], 0 offen offset:384// 000000009CC4: E1341180 80088F08
	v_mfma_f32_16x16x16_bf16 v[56:59], a[156:157], a[44:45], v[56:59]// 000000009CCC: D3E10038 1CE2599C
	ds_read_b128 v[120:123], v12 offset:15744                  // 000000009CD4: D9FE3D80 7800000C
	ds_write_b32 v11, v35 offset:1184                          // 000000009CDC: D81A04A0 0000230B
	v_mfma_f32_16x16x16_bf16 v[56:59], a[158:159], a[46:47], v[56:59]// 000000009CE4: D3E10038 1CE25D9E
	s_add_i32 s82, s59, s99                                    // 000000009CEC: 8152633B
	s_sub_i32 s82, s82, 1                                      // 000000009CF0: 81D28152
	s_add_i32 s81, s59, 16                                     // 000000009CF4: 8151903B
	s_sub_i32 s81, s81, s100                                   // 000000009CF8: 81D16451
	s_add_i32 s81, s81, 1                                      // 000000009CFC: 81518151
	s_branch label_17D3                                        // 000000009D00: BF820000

0000000000009d04 <label_17D3>:
	s_add_i32 s62, 0, s46                                      // 000000009D04: 813E2E80
	s_mul_i32 s62, s62, 16                                     // 000000009D08: 923E903E
	s_add_i32 s62, s80, s62                                    // 000000009D0C: 813E3E50
	s_add_i32 s61, s62, 16                                     // 000000009D10: 813D903E
	s_add_i32 s61, s61, 16                                     // 000000009D14: 813D903D
	s_cmp_lt_i32 s61, s81                                      // 000000009D18: BF04513D
	s_cselect_b32 s60, 1, 0                                    // 000000009D1C: 853C8081
	s_sub_i32 s62, s62, 16                                     // 000000009D20: 81BE903E
	s_cmp_gt_i32 s62, s82                                      // 000000009D24: BF02523E
	s_cselect_b32 s61, 1, 0                                    // 000000009D28: 853D8081
	s_or_b32 s60, s60, s61                                     // 000000009D2C: 873C3D3C
	s_cmp_eq_i32 s60, 1                                        // 000000009D30: BF00813C
	s_cbranch_scc1 label_1866                                  // 000000009D34: BF850085
	s_add_i32 s61, s62, 32                                     // 000000009D38: 813DA03E
	s_add_i32 s62, s62, 16                                     // 000000009D3C: 813E903E
	s_cmp_lt_i32 s62, s81                                      // 000000009D40: BF04513E
	s_cselect_b32 s60, 1, 0                                    // 000000009D44: 853C8081
	s_cmp_gt_i32 s61, s82                                      // 000000009D48: BF02523D
	s_cselect_b32 s61, 1, 0                                    // 000000009D4C: 853D8081
	s_or_b32 s60, s60, s61                                     // 000000009D50: 873C3D3C
	s_cmp_eq_i32 s60, 1                                        // 000000009D54: BF00813C
	s_cbranch_scc1 label_1819                                  // 000000009D58: BF85002F
	s_branch label_17EA                                        // 000000009D5C: BF820000

0000000000009d60 <label_17EA>:
	s_add_i32 s62, 4, s46                                      // 000000009D60: 813E2E84
	s_mul_i32 s62, s62, 16                                     // 000000009D64: 923E903E
	s_add_i32 s62, s80, s62                                    // 000000009D68: 813E3E50
	s_add_i32 s61, s62, 16                                     // 000000009D6C: 813D903E
	s_add_i32 s61, s61, 16                                     // 000000009D70: 813D903D
	s_cmp_lt_i32 s61, s81                                      // 000000009D74: BF04513D
	s_cselect_b32 s60, 1, 0                                    // 000000009D78: 853C8081
	s_sub_i32 s62, s62, 16                                     // 000000009D7C: 81BE903E
	s_cmp_gt_i32 s62, s82                                      // 000000009D80: BF02523E
	s_cselect_b32 s61, 1, 0                                    // 000000009D84: 853D8081
	s_or_b32 s60, s60, s61                                     // 000000009D88: 873C3D3C
	s_cmp_eq_i32 s60, 1                                        // 000000009D8C: BF00813C
	s_cbranch_scc1 label_18B8                                  // 000000009D90: BF8500C0
	s_add_i32 s61, s62, 32                                     // 000000009D94: 813DA03E
	s_add_i32 s62, s62, 16                                     // 000000009D98: 813E903E
	s_cmp_lt_i32 s62, s81                                      // 000000009D9C: BF04513E
	s_cselect_b32 s60, 1, 0                                    // 000000009DA0: 853C8081
	s_cmp_gt_i32 s61, s82                                      // 000000009DA4: BF02523D
	s_cselect_b32 s61, 1, 0                                    // 000000009DA8: 853D8081
	s_or_b32 s60, s60, s61                                     // 000000009DAC: 873C3D3C
	s_cmp_eq_i32 s60, 1                                        // 000000009DB0: BF00813C
	s_cbranch_scc1 label_186B                                  // 000000009DB4: BF85006A
	s_branch label_1801                                        // 000000009DB8: BF820000

0000000000009dbc <label_1801>:
	s_add_i32 s62, 8, s46                                      // 000000009DBC: 813E2E88
	s_mul_i32 s62, s62, 16                                     // 000000009DC0: 923E903E
	s_add_i32 s62, s80, s62                                    // 000000009DC4: 813E3E50
	s_add_i32 s61, s62, 16                                     // 000000009DC8: 813D903E
	s_add_i32 s61, s61, 16                                     // 000000009DCC: 813D903D
	s_cmp_lt_i32 s61, s81                                      // 000000009DD0: BF04513D
	s_cselect_b32 s60, 1, 0                                    // 000000009DD4: 853C8081
	s_sub_i32 s62, s62, 16                                     // 000000009DD8: 81BE903E
	s_cmp_gt_i32 s62, s82                                      // 000000009DDC: BF02523E
	s_cselect_b32 s61, 1, 0                                    // 000000009DE0: 853D8081
	s_or_b32 s60, s60, s61                                     // 000000009DE4: 873C3D3C
	s_cmp_eq_i32 s60, 1                                        // 000000009DE8: BF00813C
	s_cbranch_scc1 label_190A                                  // 000000009DEC: BF8500FB
	s_add_i32 s61, s62, 32                                     // 000000009DF0: 813DA03E
	s_add_i32 s62, s62, 16                                     // 000000009DF4: 813E903E
	s_cmp_lt_i32 s62, s81                                      // 000000009DF8: BF04513E
	s_cselect_b32 s60, 1, 0                                    // 000000009DFC: 853C8081
	s_cmp_gt_i32 s61, s82                                      // 000000009E00: BF02523D
	s_cselect_b32 s61, 1, 0                                    // 000000009E04: 853D8081
	s_or_b32 s60, s60, s61                                     // 000000009E08: 873C3D3C
	s_cmp_eq_i32 s60, 1                                        // 000000009E0C: BF00813C
	s_cbranch_scc1 label_18BD                                  // 000000009E10: BF8500A5
	s_branch label_190F                                        // 000000009E14: BF8200F6

0000000000009e18 <label_1819>:
	v_and_b32_e32 v28, 15, v0                                  // 000000009E18: 2638008F
	v_add_u32_e32 v28, s62, v28                                // 000000009E1C: 6838383E
	v_lshrrev_b32_e32 v29, 4, v0                               // 000000009E20: 203A0084
	v_lshlrev_b32_e32 v29, 2, v29                              // 000000009E24: 243A3A82
	v_add_i32 v29, 0, v29                                      // 000000009E28: D29C001D 00023A80
	v_add_i32 v29, s59, v29                                    // 000000009E30: D29C001D 00023A3B
	v_sub_i32 v29, v29, v28                                    // 000000009E38: D29D001D 0002391D
	v_cmp_ge_i32_e64 vcc, v29, s100                            // 000000009E40: D0C6006A 0000C91D
	v_sub_i32 v29, 0, v29                                      // 000000009E48: D29D001D 00023A80
	v_cndmask_b32_e32 v48, v48, v151, vcc                      // 000000009E50: 00612F30
	v_cmp_ge_i32_e64 vcc, v29, s99                             // 000000009E54: D0C6006A 0000C71D
	s_nop 1                                                    // 000000009E5C: BF800001
	v_cndmask_b32_e32 v48, v48, v151, vcc                      // 000000009E60: 00612F30
	v_and_b32_e32 v28, 15, v0                                  // 000000009E64: 2638008F
	v_add_u32_e32 v28, s62, v28                                // 000000009E68: 6838383E
	v_lshrrev_b32_e32 v29, 4, v0                               // 000000009E6C: 203A0084
	v_lshlrev_b32_e32 v29, 2, v29                              // 000000009E70: 243A3A82
	v_add_i32 v29, 1, v29                                      // 000000009E74: D29C001D 00023A81
	v_add_i32 v29, s59, v29                                    // 000000009E7C: D29C001D 00023A3B
	v_sub_i32 v29, v29, v28                                    // 000000009E84: D29D001D 0002391D
	v_cmp_ge_i32_e64 vcc, v29, s100                            // 000000009E8C: D0C6006A 0000C91D
	v_sub_i32 v29, 0, v29                                      // 000000009E94: D29D001D 00023A80
	v_cndmask_b32_e32 v49, v49, v151, vcc                      // 000000009E9C: 00632F31
	v_cmp_ge_i32_e64 vcc, v29, s99                             // 000000009EA0: D0C6006A 0000C71D
	s_nop 1                                                    // 000000009EA8: BF800001
	v_cndmask_b32_e32 v49, v49, v151, vcc                      // 000000009EAC: 00632F31
	v_and_b32_e32 v28, 15, v0                                  // 000000009EB0: 2638008F
	v_add_u32_e32 v28, s62, v28                                // 000000009EB4: 6838383E
	v_lshrrev_b32_e32 v29, 4, v0                               // 000000009EB8: 203A0084
	v_lshlrev_b32_e32 v29, 2, v29                              // 000000009EBC: 243A3A82
	v_add_i32 v29, 2, v29                                      // 000000009EC0: D29C001D 00023A82
	v_add_i32 v29, s59, v29                                    // 000000009EC8: D29C001D 00023A3B
	v_sub_i32 v29, v29, v28                                    // 000000009ED0: D29D001D 0002391D
	v_cmp_ge_i32_e64 vcc, v29, s100                            // 000000009ED8: D0C6006A 0000C91D
	v_sub_i32 v29, 0, v29                                      // 000000009EE0: D29D001D 00023A80
	v_cndmask_b32_e32 v50, v50, v151, vcc                      // 000000009EE8: 00652F32
	v_cmp_ge_i32_e64 vcc, v29, s99                             // 000000009EEC: D0C6006A 0000C71D
	s_nop 1                                                    // 000000009EF4: BF800001
	v_cndmask_b32_e32 v50, v50, v151, vcc                      // 000000009EF8: 00652F32
	v_and_b32_e32 v28, 15, v0                                  // 000000009EFC: 2638008F
	v_add_u32_e32 v28, s62, v28                                // 000000009F00: 6838383E
	v_lshrrev_b32_e32 v29, 4, v0                               // 000000009F04: 203A0084
	v_lshlrev_b32_e32 v29, 2, v29                              // 000000009F08: 243A3A82
	v_add_i32 v29, 3, v29                                      // 000000009F0C: D29C001D 00023A83
	v_add_i32 v29, s59, v29                                    // 000000009F14: D29C001D 00023A3B
	v_sub_i32 v29, v29, v28                                    // 000000009F1C: D29D001D 0002391D
	v_cmp_ge_i32_e64 vcc, v29, s100                            // 000000009F24: D0C6006A 0000C91D
	v_sub_i32 v29, 0, v29                                      // 000000009F2C: D29D001D 00023A80
	v_cndmask_b32_e32 v51, v51, v151, vcc                      // 000000009F34: 00672F33
	v_cmp_ge_i32_e64 vcc, v29, s99                             // 000000009F38: D0C6006A 0000C71D
	s_nop 1                                                    // 000000009F40: BF800001
	v_cndmask_b32_e32 v51, v51, v151, vcc                      // 000000009F44: 00672F33
	s_branch label_17EA                                        // 000000009F48: BF82FF85

0000000000009f4c <label_1866>:
	v_mov_b32_e32 v48, v151                                    // 000000009F4C: 7E600397
	v_mov_b32_e32 v49, v151                                    // 000000009F50: 7E620397
	v_mov_b32_e32 v50, v151                                    // 000000009F54: 7E640397
	v_mov_b32_e32 v51, v151                                    // 000000009F58: 7E660397
	s_branch label_17EA                                        // 000000009F5C: BF82FF80

0000000000009f60 <label_186B>:
	v_and_b32_e32 v28, 15, v0                                  // 000000009F60: 2638008F
	v_add_u32_e32 v28, s62, v28                                // 000000009F64: 6838383E
	v_lshrrev_b32_e32 v29, 4, v0                               // 000000009F68: 203A0084
	v_lshlrev_b32_e32 v29, 2, v29                              // 000000009F6C: 243A3A82
	v_add_i32 v29, 0, v29                                      // 000000009F70: D29C001D 00023A80
	v_add_i32 v29, s59, v29                                    // 000000009F78: D29C001D 00023A3B
	v_sub_i32 v29, v29, v28                                    // 000000009F80: D29D001D 0002391D
	v_cmp_ge_i32_e64 vcc, v29, s100                            // 000000009F88: D0C6006A 0000C91D
	v_sub_i32 v29, 0, v29                                      // 000000009F90: D29D001D 00023A80
	v_cndmask_b32_e32 v52, v52, v151, vcc                      // 000000009F98: 00692F34
	v_cmp_ge_i32_e64 vcc, v29, s99                             // 000000009F9C: D0C6006A 0000C71D
	s_nop 1                                                    // 000000009FA4: BF800001
	v_cndmask_b32_e32 v52, v52, v151, vcc                      // 000000009FA8: 00692F34
	v_and_b32_e32 v28, 15, v0                                  // 000000009FAC: 2638008F
	v_add_u32_e32 v28, s62, v28                                // 000000009FB0: 6838383E
	v_lshrrev_b32_e32 v29, 4, v0                               // 000000009FB4: 203A0084
	v_lshlrev_b32_e32 v29, 2, v29                              // 000000009FB8: 243A3A82
	v_add_i32 v29, 1, v29                                      // 000000009FBC: D29C001D 00023A81
	v_add_i32 v29, s59, v29                                    // 000000009FC4: D29C001D 00023A3B
	v_sub_i32 v29, v29, v28                                    // 000000009FCC: D29D001D 0002391D
	v_cmp_ge_i32_e64 vcc, v29, s100                            // 000000009FD4: D0C6006A 0000C91D
	v_sub_i32 v29, 0, v29                                      // 000000009FDC: D29D001D 00023A80
	v_cndmask_b32_e32 v53, v53, v151, vcc                      // 000000009FE4: 006B2F35
	v_cmp_ge_i32_e64 vcc, v29, s99                             // 000000009FE8: D0C6006A 0000C71D
	s_nop 1                                                    // 000000009FF0: BF800001
	v_cndmask_b32_e32 v53, v53, v151, vcc                      // 000000009FF4: 006B2F35
	v_and_b32_e32 v28, 15, v0                                  // 000000009FF8: 2638008F
	v_add_u32_e32 v28, s62, v28                                // 000000009FFC: 6838383E
	v_lshrrev_b32_e32 v29, 4, v0                               // 00000000A000: 203A0084
	v_lshlrev_b32_e32 v29, 2, v29                              // 00000000A004: 243A3A82
	v_add_i32 v29, 2, v29                                      // 00000000A008: D29C001D 00023A82
	v_add_i32 v29, s59, v29                                    // 00000000A010: D29C001D 00023A3B
	v_sub_i32 v29, v29, v28                                    // 00000000A018: D29D001D 0002391D
	v_cmp_ge_i32_e64 vcc, v29, s100                            // 00000000A020: D0C6006A 0000C91D
	v_sub_i32 v29, 0, v29                                      // 00000000A028: D29D001D 00023A80
	v_cndmask_b32_e32 v54, v54, v151, vcc                      // 00000000A030: 006D2F36
	v_cmp_ge_i32_e64 vcc, v29, s99                             // 00000000A034: D0C6006A 0000C71D
	s_nop 1                                                    // 00000000A03C: BF800001
	v_cndmask_b32_e32 v54, v54, v151, vcc                      // 00000000A040: 006D2F36
	v_and_b32_e32 v28, 15, v0                                  // 00000000A044: 2638008F
	v_add_u32_e32 v28, s62, v28                                // 00000000A048: 6838383E
	v_lshrrev_b32_e32 v29, 4, v0                               // 00000000A04C: 203A0084
	v_lshlrev_b32_e32 v29, 2, v29                              // 00000000A050: 243A3A82
	v_add_i32 v29, 3, v29                                      // 00000000A054: D29C001D 00023A83
	v_add_i32 v29, s59, v29                                    // 00000000A05C: D29C001D 00023A3B
	v_sub_i32 v29, v29, v28                                    // 00000000A064: D29D001D 0002391D
	v_cmp_ge_i32_e64 vcc, v29, s100                            // 00000000A06C: D0C6006A 0000C91D
	v_sub_i32 v29, 0, v29                                      // 00000000A074: D29D001D 00023A80
	v_cndmask_b32_e32 v55, v55, v151, vcc                      // 00000000A07C: 006F2F37
	v_cmp_ge_i32_e64 vcc, v29, s99                             // 00000000A080: D0C6006A 0000C71D
	s_nop 1                                                    // 00000000A088: BF800001
	v_cndmask_b32_e32 v55, v55, v151, vcc                      // 00000000A08C: 006F2F37
	s_branch label_1801                                        // 00000000A090: BF82FF4A

000000000000a094 <label_18B8>:
	v_mov_b32_e32 v52, v151                                    // 00000000A094: 7E680397
	v_mov_b32_e32 v53, v151                                    // 00000000A098: 7E6A0397
	v_mov_b32_e32 v54, v151                                    // 00000000A09C: 7E6C0397
	v_mov_b32_e32 v55, v151                                    // 00000000A0A0: 7E6E0397
	s_branch label_1801                                        // 00000000A0A4: BF82FF45

000000000000a0a8 <label_18BD>:
	v_and_b32_e32 v28, 15, v0                                  // 00000000A0A8: 2638008F
	v_add_u32_e32 v28, s62, v28                                // 00000000A0AC: 6838383E
	v_lshrrev_b32_e32 v29, 4, v0                               // 00000000A0B0: 203A0084
	v_lshlrev_b32_e32 v29, 2, v29                              // 00000000A0B4: 243A3A82
	v_add_i32 v29, 0, v29                                      // 00000000A0B8: D29C001D 00023A80
	v_add_i32 v29, s59, v29                                    // 00000000A0C0: D29C001D 00023A3B
	v_sub_i32 v29, v29, v28                                    // 00000000A0C8: D29D001D 0002391D
	v_cmp_ge_i32_e64 vcc, v29, s100                            // 00000000A0D0: D0C6006A 0000C91D
	v_sub_i32 v29, 0, v29                                      // 00000000A0D8: D29D001D 00023A80
	v_cndmask_b32_e32 v56, v56, v151, vcc                      // 00000000A0E0: 00712F38
	v_cmp_ge_i32_e64 vcc, v29, s99                             // 00000000A0E4: D0C6006A 0000C71D
	s_nop 1                                                    // 00000000A0EC: BF800001
	v_cndmask_b32_e32 v56, v56, v151, vcc                      // 00000000A0F0: 00712F38
	v_and_b32_e32 v28, 15, v0                                  // 00000000A0F4: 2638008F
	v_add_u32_e32 v28, s62, v28                                // 00000000A0F8: 6838383E
	v_lshrrev_b32_e32 v29, 4, v0                               // 00000000A0FC: 203A0084
	v_lshlrev_b32_e32 v29, 2, v29                              // 00000000A100: 243A3A82
	v_add_i32 v29, 1, v29                                      // 00000000A104: D29C001D 00023A81
	v_add_i32 v29, s59, v29                                    // 00000000A10C: D29C001D 00023A3B
	v_sub_i32 v29, v29, v28                                    // 00000000A114: D29D001D 0002391D
	v_cmp_ge_i32_e64 vcc, v29, s100                            // 00000000A11C: D0C6006A 0000C91D
	v_sub_i32 v29, 0, v29                                      // 00000000A124: D29D001D 00023A80
	v_cndmask_b32_e32 v57, v57, v151, vcc                      // 00000000A12C: 00732F39
	v_cmp_ge_i32_e64 vcc, v29, s99                             // 00000000A130: D0C6006A 0000C71D
	s_nop 1                                                    // 00000000A138: BF800001
	v_cndmask_b32_e32 v57, v57, v151, vcc                      // 00000000A13C: 00732F39
	v_and_b32_e32 v28, 15, v0                                  // 00000000A140: 2638008F
	v_add_u32_e32 v28, s62, v28                                // 00000000A144: 6838383E
	v_lshrrev_b32_e32 v29, 4, v0                               // 00000000A148: 203A0084
	v_lshlrev_b32_e32 v29, 2, v29                              // 00000000A14C: 243A3A82
	v_add_i32 v29, 2, v29                                      // 00000000A150: D29C001D 00023A82
	v_add_i32 v29, s59, v29                                    // 00000000A158: D29C001D 00023A3B
	v_sub_i32 v29, v29, v28                                    // 00000000A160: D29D001D 0002391D
	v_cmp_ge_i32_e64 vcc, v29, s100                            // 00000000A168: D0C6006A 0000C91D
	v_sub_i32 v29, 0, v29                                      // 00000000A170: D29D001D 00023A80
	v_cndmask_b32_e32 v58, v58, v151, vcc                      // 00000000A178: 00752F3A
	v_cmp_ge_i32_e64 vcc, v29, s99                             // 00000000A17C: D0C6006A 0000C71D
	s_nop 1                                                    // 00000000A184: BF800001
	v_cndmask_b32_e32 v58, v58, v151, vcc                      // 00000000A188: 00752F3A
	v_and_b32_e32 v28, 15, v0                                  // 00000000A18C: 2638008F
	v_add_u32_e32 v28, s62, v28                                // 00000000A190: 6838383E
	v_lshrrev_b32_e32 v29, 4, v0                               // 00000000A194: 203A0084
	v_lshlrev_b32_e32 v29, 2, v29                              // 00000000A198: 243A3A82
	v_add_i32 v29, 3, v29                                      // 00000000A19C: D29C001D 00023A83
	v_add_i32 v29, s59, v29                                    // 00000000A1A4: D29C001D 00023A3B
	v_sub_i32 v29, v29, v28                                    // 00000000A1AC: D29D001D 0002391D
	v_cmp_ge_i32_e64 vcc, v29, s100                            // 00000000A1B4: D0C6006A 0000C91D
	v_sub_i32 v29, 0, v29                                      // 00000000A1BC: D29D001D 00023A80
	v_cndmask_b32_e32 v59, v59, v151, vcc                      // 00000000A1C4: 00772F3B
	v_cmp_ge_i32_e64 vcc, v29, s99                             // 00000000A1C8: D0C6006A 0000C71D
	s_nop 1                                                    // 00000000A1D0: BF800001
	v_cndmask_b32_e32 v59, v59, v151, vcc                      // 00000000A1D4: 00772F3B
	s_branch label_190F                                        // 00000000A1D8: BF820005

000000000000a1dc <label_190A>:
	v_mov_b32_e32 v56, v151                                    // 00000000A1DC: 7E700397
	v_mov_b32_e32 v57, v151                                    // 00000000A1E0: 7E720397
	v_mov_b32_e32 v58, v151                                    // 00000000A1E4: 7E740397
	v_mov_b32_e32 v59, v151                                    // 00000000A1E8: 7E760397
	s_branch label_190F                                        // 00000000A1EC: BF820000

000000000000a1f0 <label_190F>:
	s_cmp_lt_i32 s94, 0xc0                                     // 00000000A1F0: BF04FF5E 000000C0
	s_cbranch_scc0 label_1964                                  // 00000000A1F8: BF84004D
	s_cmp_le_i32 s94, 64                                       // 00000000A1FC: BF05C05E
	s_cbranch_scc1 label_191B                                  // 00000000A200: BF850007
	s_cmp_le_i32 s94, 0x80                                     // 00000000A204: BF05FF5E 00000080
	s_cbranch_scc1 label_1933                                  // 00000000A20C: BF850017
	s_cmp_lt_i32 s94, 0xc0                                     // 00000000A210: BF04FF5E 000000C0
	s_cbranch_scc1 label_194B                                  // 00000000A218: BF85002C
	s_branch label_1964                                        // 00000000A21C: BF820044

000000000000a220 <label_191B>:
	s_mov_b32 s60, 0                                           // 00000000A220: BEBC0080
	v_and_b32_e32 v28, 15, v0                                  // 00000000A224: 2638008F
	v_add_u32_e64 v28, v28, s60                                // 00000000A228: D134001C 0000791C
	v_mul_i32_i24_e64 v29, s46, 16                             // 00000000A230: D106001D 0001202E
	v_add_u32_e32 v28, v28, v29                                // 00000000A238: 68383B1C
	v_cmp_lt_u32_e64 s[60:61], v28, s94                        // 00000000A23C: D0C9003C 0000BD1C
	s_nop 1                                                    // 00000000A244: BF800001
	v_cndmask_b32_e64 v48, v151, v48, s[60:61]                 // 00000000A248: D1000030 00F26197
	v_cndmask_b32_e64 v49, v151, v49, s[60:61]                 // 00000000A250: D1000031 00F26397
	v_cndmask_b32_e64 v50, v151, v50, s[60:61]                 // 00000000A258: D1000032 00F26597
	v_cndmask_b32_e64 v51, v151, v51, s[60:61]                 // 00000000A260: D1000033 00F26797
	s_branch label_1946                                        // 00000000A268: BF820013

000000000000a26c <label_1933>:
	s_mov_b32 s60, 64                                          // 00000000A26C: BEBC00C0
	v_and_b32_e32 v28, 15, v0                                  // 00000000A270: 2638008F
	v_add_u32_e64 v28, v28, s60                                // 00000000A274: D134001C 0000791C
	v_mul_i32_i24_e64 v29, s46, 16                             // 00000000A27C: D106001D 0001202E
	v_add_u32_e32 v28, v28, v29                                // 00000000A284: 68383B1C
	v_cmp_lt_u32_e64 s[60:61], v28, s94                        // 00000000A288: D0C9003C 0000BD1C
	s_nop 1                                                    // 00000000A290: BF800001
	v_cndmask_b32_e64 v52, v151, v52, s[60:61]                 // 00000000A294: D1000034 00F26997
	v_cndmask_b32_e64 v53, v151, v53, s[60:61]                 // 00000000A29C: D1000035 00F26B97
	v_cndmask_b32_e64 v54, v151, v54, s[60:61]                 // 00000000A2A4: D1000036 00F26D97
	v_cndmask_b32_e64 v55, v151, v55, s[60:61]                 // 00000000A2AC: D1000037 00F26F97
	s_branch label_195F                                        // 00000000A2B4: BF820019

000000000000a2b8 <label_1946>:
	v_mov_b32_e32 v52, v151                                    // 00000000A2B8: 7E680397
	v_mov_b32_e32 v53, v151                                    // 00000000A2BC: 7E6A0397
	v_mov_b32_e32 v54, v151                                    // 00000000A2C0: 7E6C0397
	v_mov_b32_e32 v55, v151                                    // 00000000A2C4: 7E6E0397
	s_branch label_195F                                        // 00000000A2C8: BF820014

000000000000a2cc <label_194B>:
	s_mov_b32 s60, 0x80                                        // 00000000A2CC: BEBC00FF 00000080
	v_and_b32_e32 v28, 15, v0                                  // 00000000A2D4: 2638008F
	v_add_u32_e64 v28, v28, s60                                // 00000000A2D8: D134001C 0000791C
	v_mul_i32_i24_e64 v29, s46, 16                             // 00000000A2E0: D106001D 0001202E
	v_add_u32_e32 v28, v28, v29                                // 00000000A2E8: 68383B1C
	v_cmp_lt_u32_e64 s[60:61], v28, s94                        // 00000000A2EC: D0C9003C 0000BD1C
	s_nop 1                                                    // 00000000A2F4: BF800001
	v_cndmask_b32_e64 v56, v151, v56, s[60:61]                 // 00000000A2F8: D1000038 00F27197
	v_cndmask_b32_e64 v57, v151, v57, s[60:61]                 // 00000000A300: D1000039 00F27397
	v_cndmask_b32_e64 v58, v151, v58, s[60:61]                 // 00000000A308: D100003A 00F27597
	v_cndmask_b32_e64 v59, v151, v59, s[60:61]                 // 00000000A310: D100003B 00F27797
	s_branch label_1964                                        // 00000000A318: BF820005

000000000000a31c <label_195F>:
	v_mov_b32_e32 v56, v151                                    // 00000000A31C: 7E700397
	v_mov_b32_e32 v57, v151                                    // 00000000A320: 7E720397
	v_mov_b32_e32 v58, v151                                    // 00000000A324: 7E740397
	v_mov_b32_e32 v59, v151                                    // 00000000A328: 7E760397
	s_branch label_1964                                        // 00000000A32C: BF820000

000000000000a330 <label_1964>:
	s_waitcnt lgkmcnt(8)                                       // 00000000A330: BF8CC87F
	s_barrier                                                  // 00000000A334: BF8A0000
	v_mfma_f32_16x16x16_bf16 v[72:75], v[92:93], a[96:97], 0   // 00000000A338: D3E10048 1202C15C
	v_fma_f32 v48, v48, s57, -v124                             // 00000000A340: D1CB0030 85F07330
	v_fma_f32 v49, v49, s57, -v125                             // 00000000A348: D1CB0031 85F47331
	v_fma_f32 v50, v50, s57, -v126                             // 00000000A350: D1CB0032 85F87332
	v_mfma_f32_16x16x16_bf16 v[72:75], v[94:95], a[98:99], v[72:75]// 00000000A358: D3E10048 1522C55E
	ds_read_b128 a[144:147], v12 offset:4352                   // 00000000A360: DBFE1100 9000000C
	ds_read_b128 a[148:151], v12 offset:4864                   // 00000000A368: DBFE1300 9400000C
	v_mfma_f32_16x16x16_bf16 v[72:75], v[96:97], a[100:101], v[72:75]// 00000000A370: D3E10048 1522C960
	v_fma_f32 v51, v51, s57, -v127                             // 00000000A378: D1CB0033 85FC7333
	v_fma_f32 v52, v52, s57, -v124                             // 00000000A380: D1CB0034 85F07334
	v_fma_f32 v53, v53, s57, -v125                             // 00000000A388: D1CB0035 85F47335
	v_mfma_f32_16x16x16_bf16 v[72:75], v[98:99], a[102:103], v[72:75]// 00000000A390: D3E10048 1522CD62
	v_fma_f32 v54, v54, s57, -v126                             // 00000000A398: D1CB0036 85F87336
	v_fma_f32 v55, v55, s57, -v127                             // 00000000A3A0: D1CB0037 85FC7337
	v_fma_f32 v56, v56, s57, -v124                             // 00000000A3A8: D1CB0038 85F07338
	v_mfma_f32_16x16x16_bf16 v[72:75], v[100:101], a[104:105], v[72:75]// 00000000A3B0: D3E10048 1522D164
	v_fma_f32 v57, v57, s57, -v125                             // 00000000A3B8: D1CB0039 85F47339
	v_fma_f32 v58, v58, s57, -v126                             // 00000000A3C0: D1CB003A 85F8733A
	v_fma_f32 v59, v59, s57, -v127                             // 00000000A3C8: D1CB003B 85FC733B
	v_mfma_f32_16x16x16_bf16 v[72:75], v[102:103], a[106:107], v[72:75]// 00000000A3D0: D3E10048 1522D566
	ds_read_b128 a[152:155], v12 offset:6528                   // 00000000A3D8: DBFE1980 9800000C
	ds_read_b128 a[156:159], v12 offset:7040                   // 00000000A3E0: DBFE1B80 9C00000C
	v_mfma_f32_16x16x16_bf16 v[72:75], v[104:105], a[108:109], v[72:75]// 00000000A3E8: D3E10048 1522D968
	v_exp_f32_e32 v48, v48                                     // 00000000A3F0: 7E604130
	v_mfma_f32_16x16x16_bf16 v[72:75], v[106:107], a[110:111], v[72:75]// 00000000A3F4: D3E10048 1522DD6A
	v_exp_f32_e32 v49, v49                                     // 00000000A3FC: 7E624131
	v_mfma_f32_16x16x16_bf16 v[76:79], v[92:93], a[112:113], 0 // 00000000A400: D3E1004C 1202E15C
	v_exp_f32_e32 v50, v50                                     // 00000000A408: 7E644132
	v_mfma_f32_16x16x16_bf16 v[76:79], v[94:95], a[114:115], v[76:79]// 00000000A40C: D3E1004C 1532E55E
	ds_read_b64 v[136:137], v19 offset:24320                   // 00000000A414: D8EC5F00 88000013
	ds_read_b64 v[138:139], v19 offset:26368                   // 00000000A41C: D8EC6700 8A000013
	v_mfma_f32_16x16x16_bf16 v[76:79], v[96:97], a[116:117], v[76:79]// 00000000A424: D3E1004C 1532E960
	v_exp_f32_e32 v51, v51                                     // 00000000A42C: 7E664133
	v_mfma_f32_16x16x16_bf16 v[76:79], v[98:99], a[118:119], v[76:79]// 00000000A430: D3E1004C 1532ED62
	ds_read_b64 v[140:141], v19 offset:28416                   // 00000000A438: D8EC6F00 8C000013
	ds_read_b64 v[142:143], v19 offset:30464                   // 00000000A440: D8EC7700 8E000013
	v_mfma_f32_16x16x16_bf16 v[76:79], v[100:101], a[120:121], v[76:79]// 00000000A448: D3E1004C 1532F164
	v_exp_f32_e32 v52, v52                                     // 00000000A450: 7E684134
	v_mfma_f32_16x16x16_bf16 v[76:79], v[102:103], a[122:123], v[76:79]// 00000000A454: D3E1004C 1532F566
	v_exp_f32_e32 v53, v53                                     // 00000000A45C: 7E6A4135
	v_mfma_f32_16x16x16_bf16 v[76:79], v[104:105], a[124:125], v[76:79]// 00000000A460: D3E1004C 1532F968
	v_exp_f32_e32 v54, v54                                     // 00000000A468: 7E6C4136
	v_mfma_f32_16x16x16_bf16 v[76:79], v[106:107], a[126:127], v[76:79]// 00000000A46C: D3E1004C 1532FD6A
	v_exp_f32_e32 v55, v55                                     // 00000000A474: 7E6E4137
	v_mfma_f32_16x16x16_bf16 v[80:83], v[92:93], a[128:129], 0 // 00000000A478: D3E10050 1203015C
	v_exp_f32_e32 v56, v56                                     // 00000000A480: 7E704138
	v_mfma_f32_16x16x16_bf16 v[80:83], v[94:95], a[130:131], v[80:83]// 00000000A484: D3E10050 1543055E
	v_exp_f32_e32 v57, v57                                     // 00000000A48C: 7E724139
	v_mfma_f32_16x16x16_bf16 v[80:83], v[96:97], a[132:133], v[80:83]// 00000000A490: D3E10050 15430960
	v_exp_f32_e32 v58, v58                                     // 00000000A498: 7E74413A
	v_mfma_f32_16x16x16_bf16 v[80:83], v[98:99], a[134:135], v[80:83]// 00000000A49C: D3E10050 15430D62
	v_exp_f32_e32 v59, v59                                     // 00000000A4A4: 7E76413B
	v_mfma_f32_16x16x16_bf16 v[80:83], v[100:101], a[136:137], v[80:83]// 00000000A4A8: D3E10050 15431164
	v_cmp_u_f32_e64 s[74:75], v48, v48                         // 00000000A4B0: D048004A 00026130
	v_add3_u32 v248, v48, v251, 1                              // 00000000A4B8: D1FF00F8 0207F730
	v_cndmask_b32_e64 v28, v248, v250, s[74:75]                // 00000000A4C0: D100001C 012BF5F8
	v_cmp_u_f32_e64 s[74:75], v49, v49                         // 00000000A4C8: D048004A 00026331
	v_add3_u32 v248, v49, v251, 1                              // 00000000A4D0: D1FF00F8 0207F731
	v_cndmask_b32_e64 v29, v248, v250, s[74:75]                // 00000000A4D8: D100001D 012BF5F8
	v_perm_b32 v144, v29, v28, s64                             // 00000000A4E0: D1ED0090 0102391D
	v_cmp_u_f32_e64 s[74:75], v50, v50                         // 00000000A4E8: D048004A 00026532
	v_add3_u32 v248, v50, v251, 1                              // 00000000A4F0: D1FF00F8 0207F732
	v_cndmask_b32_e64 v28, v248, v250, s[74:75]                // 00000000A4F8: D100001C 012BF5F8
	v_cmp_u_f32_e64 s[74:75], v51, v51                         // 00000000A500: D048004A 00026733
	v_add3_u32 v248, v51, v251, 1                              // 00000000A508: D1FF00F8 0207F733
	v_cndmask_b32_e64 v29, v248, v250, s[74:75]                // 00000000A510: D100001D 012BF5F8
	v_perm_b32 v145, v29, v28, s64                             // 00000000A518: D1ED0091 0102391D
	v_cmp_u_f32_e64 s[74:75], v52, v52                         // 00000000A520: D048004A 00026934
	v_add3_u32 v248, v52, v251, 1                              // 00000000A528: D1FF00F8 0207F734
	v_cndmask_b32_e64 v28, v248, v250, s[74:75]                // 00000000A530: D100001C 012BF5F8
	v_cmp_u_f32_e64 s[74:75], v53, v53                         // 00000000A538: D048004A 00026B35
	v_add3_u32 v248, v53, v251, 1                              // 00000000A540: D1FF00F8 0207F735
	v_cndmask_b32_e64 v29, v248, v250, s[74:75]                // 00000000A548: D100001D 012BF5F8
	v_perm_b32 v146, v29, v28, s64                             // 00000000A550: D1ED0092 0102391D
	v_mfma_f32_16x16x16_bf16 v[80:83], v[102:103], a[138:139], v[80:83]// 00000000A558: D3E10050 15431566
	v_cmp_u_f32_e64 s[74:75], v54, v54                         // 00000000A560: D048004A 00026D36
	v_add3_u32 v248, v54, v251, 1                              // 00000000A568: D1FF00F8 0207F736
	v_cndmask_b32_e64 v28, v248, v250, s[74:75]                // 00000000A570: D100001C 012BF5F8
	v_cmp_u_f32_e64 s[74:75], v55, v55                         // 00000000A578: D048004A 00026F37
	v_add3_u32 v248, v55, v251, 1                              // 00000000A580: D1FF00F8 0207F737
	v_cndmask_b32_e64 v29, v248, v250, s[74:75]                // 00000000A588: D100001D 012BF5F8
	v_perm_b32 v147, v29, v28, s64                             // 00000000A590: D1ED0093 0102391D
	v_cmp_u_f32_e64 s[74:75], v56, v56                         // 00000000A598: D048004A 00027138
	v_add3_u32 v248, v56, v251, 1                              // 00000000A5A0: D1FF00F8 0207F738
	v_cndmask_b32_e64 v28, v248, v250, s[74:75]                // 00000000A5A8: D100001C 012BF5F8
	v_cmp_u_f32_e64 s[74:75], v57, v57                         // 00000000A5B0: D048004A 00027339
	v_add3_u32 v248, v57, v251, 1                              // 00000000A5B8: D1FF00F8 0207F739
	v_cndmask_b32_e64 v29, v248, v250, s[74:75]                // 00000000A5C0: D100001D 012BF5F8
	v_perm_b32 v148, v29, v28, s64                             // 00000000A5C8: D1ED0094 0102391D
	v_cmp_u_f32_e64 s[74:75], v58, v58                         // 00000000A5D0: D048004A 0002753A
	v_add3_u32 v248, v58, v251, 1                              // 00000000A5D8: D1FF00F8 0207F73A
	v_cndmask_b32_e64 v28, v248, v250, s[74:75]                // 00000000A5E0: D100001C 012BF5F8
	v_cmp_u_f32_e64 s[74:75], v59, v59                         // 00000000A5E8: D048004A 0002773B
	v_add3_u32 v248, v59, v251, 1                              // 00000000A5F0: D1FF00F8 0207F73B
	v_cndmask_b32_e64 v29, v248, v250, s[74:75]                // 00000000A5F8: D100001D 012BF5F8
	v_perm_b32 v149, v29, v28, s64                             // 00000000A600: D1ED0095 0102391D
	v_mfma_f32_16x16x16_bf16 v[80:83], v[104:105], a[140:141], v[80:83]// 00000000A608: D3E10050 15431968
	v_add_u32_e32 v7, s66, v7                                  // 00000000A610: 680E0E42
	v_add_u32_e32 v8, s66, v8                                  // 00000000A614: 68101042
	v_mfma_f32_16x16x16_bf16 v[80:83], v[106:107], a[142:143], v[80:83]// 00000000A618: D3E10050 15431D6A
	s_waitcnt lgkmcnt(0)                                       // 00000000A620: BF8CC07F
	s_barrier                                                  // 00000000A624: BF8A0000
	v_mfma_f32_16x16x16_bf16 v[152:155], v[108:109], v[144:145], v[152:155]// 00000000A628: D3E10098 0663216C
	v_subrev_f32_dpp v72, v150, v72 quad_perm:[0,0,0,0] row_mask:0xf bank_mask:0xf// 00000000A630: 069090FA FF000096
	v_subrev_f32_dpp v73, v150, v73 quad_perm:[1,1,1,1] row_mask:0xf bank_mask:0xf// 00000000A638: 069292FA FF005596
	v_subrev_f32_dpp v74, v150, v74 quad_perm:[2,2,2,2] row_mask:0xf bank_mask:0xf// 00000000A640: 069494FA FF00AA96
	v_mfma_f32_16x16x16_bf16 v[156:159], v[110:111], v[144:145], v[156:159]// 00000000A648: D3E1009C 0673216E
	v_subrev_f32_dpp v75, v150, v75 quad_perm:[3,3,3,3] row_mask:0xf bank_mask:0xf// 00000000A650: 069696FA FF00FF96
	v_subrev_f32_dpp v76, v150, v76 quad_perm:[0,0,0,0] row_mask:0xf bank_mask:0xf// 00000000A658: 069898FA FF000096
	v_subrev_f32_dpp v77, v150, v77 quad_perm:[1,1,1,1] row_mask:0xf bank_mask:0xf// 00000000A660: 069A9AFA FF005596
	v_mfma_f32_16x16x16_bf16 v[160:163], v[112:113], v[144:145], v[160:163]// 00000000A668: D3E100A0 06832170
	v_mul_f32_e32 v72, v48, v72                                // 00000000A670: 0A909130
	v_mul_f32_e32 v73, v49, v73                                // 00000000A674: 0A929331
	v_mul_f32_e32 v74, v50, v74                                // 00000000A678: 0A949532
	v_mfma_f32_16x16x16_bf16 v[164:167], v[114:115], v[144:145], v[164:167]// 00000000A67C: D3E100A4 06932172
	v_mul_f32_e32 v75, v51, v75                                // 00000000A684: 0A969733
	v_mul_f32_e32 v76, v52, v76                                // 00000000A688: 0A989934
	v_mul_f32_e32 v77, v53, v77                                // 00000000A68C: 0A9A9B35
	v_mfma_f32_16x16x16_bf16 v[168:171], v[116:117], v[144:145], v[168:171]// 00000000A690: D3E100A8 06A32174
	v_cmp_u_f32_e64 s[74:75], v72, v72                         // 00000000A698: D048004A 00029148
	v_add3_u32 v248, v72, v251, 1                              // 00000000A6A0: D1FF00F8 0207F748
	v_cndmask_b32_e64 v28, v248, v250, s[74:75]                // 00000000A6A8: D100001C 012BF5F8
	v_cmp_u_f32_e64 s[74:75], v73, v73                         // 00000000A6B0: D048004A 00029349
	v_add3_u32 v248, v73, v251, 1                              // 00000000A6B8: D1FF00F8 0207F749
	v_cndmask_b32_e64 v29, v248, v250, s[74:75]                // 00000000A6C0: D100001D 012BF5F8
	v_perm_b32 v72, v29, v28, s64                              // 00000000A6C8: D1ED0048 0102391D
	v_cmp_u_f32_e64 s[74:75], v74, v74                         // 00000000A6D0: D048004A 0002954A
	v_add3_u32 v248, v74, v251, 1                              // 00000000A6D8: D1FF00F8 0207F74A
	v_cndmask_b32_e64 v28, v248, v250, s[74:75]                // 00000000A6E0: D100001C 012BF5F8
	v_cmp_u_f32_e64 s[74:75], v75, v75                         // 00000000A6E8: D048004A 0002974B
	v_add3_u32 v248, v75, v251, 1                              // 00000000A6F0: D1FF00F8 0207F74B
	v_cndmask_b32_e64 v29, v248, v250, s[74:75]                // 00000000A6F8: D100001D 012BF5F8
	v_perm_b32 v73, v29, v28, s64                              // 00000000A700: D1ED0049 0102391D
	v_cmp_u_f32_e64 s[74:75], v76, v76                         // 00000000A708: D048004A 0002994C
	v_add3_u32 v248, v76, v251, 1                              // 00000000A710: D1FF00F8 0207F74C
	v_cndmask_b32_e64 v28, v248, v250, s[74:75]                // 00000000A718: D100001C 012BF5F8
	v_cmp_u_f32_e64 s[74:75], v77, v77                         // 00000000A720: D048004A 00029B4D
	v_add3_u32 v248, v77, v251, 1                              // 00000000A728: D1FF00F8 0207F74D
	v_cndmask_b32_e64 v29, v248, v250, s[74:75]                // 00000000A730: D100001D 012BF5F8
	v_perm_b32 v74, v29, v28, s64                              // 00000000A738: D1ED004A 0102391D
	v_mfma_f32_16x16x16_bf16 v[172:175], v[118:119], v[144:145], v[172:175]// 00000000A740: D3E100AC 06B32176
	v_mov_b32_dpp v16, v72 quad_perm:[1,0,3,2] row_mask:0xf bank_mask:0xf// 00000000A748: 7E2002FA FF00B148
	v_perm_b32 v48, v16, v72, v15                              // 00000000A750: D1ED0030 043E9110
	v_mov_b32_dpp v16, v73 quad_perm:[1,0,3,2] row_mask:0xf bank_mask:0xf// 00000000A758: 7E2002FA FF00B149
	v_mfma_f32_16x16x16_bf16 v[176:179], v[120:121], v[144:145], v[176:179]// 00000000A760: D3E100B0 06C32178
	ds_write_b32 v18, v48 offset:17408                         // 00000000A768: D81A4400 00003012
	v_mfma_f32_16x16x16_bf16 v[180:183], v[122:123], v[144:145], v[180:183]// 00000000A770: D3E100B4 06D3217A
	v_perm_b32 v49, v16, v73, v15                              // 00000000A778: D1ED0031 043E9310
	v_mov_b32_dpp v16, v74 quad_perm:[1,0,3,2] row_mask:0xf bank_mask:0xf// 00000000A780: 7E2002FA FF00B14A
	v_perm_b32 v50, v16, v74, v15                              // 00000000A788: D1ED0032 043E9510
	v_mfma_f32_16x16x16_bf16 v[184:187], v[108:109], v[146:147], v[184:187]// 00000000A790: D3E100B8 06E3256C
	ds_write_b32 v18, v49 offset:17952                         // 00000000A798: D81A4620 00003112
	v_mfma_f32_16x16x16_bf16 v[188:191], v[110:111], v[146:147], v[188:191]// 00000000A7A0: D3E100BC 06F3256E
	v_subrev_f32_dpp v78, v150, v78 quad_perm:[2,2,2,2] row_mask:0xf bank_mask:0xf// 00000000A7A8: 069C9CFA FF00AA96
	v_subrev_f32_dpp v79, v150, v79 quad_perm:[3,3,3,3] row_mask:0xf bank_mask:0xf// 00000000A7B0: 069E9EFA FF00FF96
	v_subrev_f32_dpp v80, v150, v80 quad_perm:[0,0,0,0] row_mask:0xf bank_mask:0xf// 00000000A7B8: 06A0A0FA FF000096
	v_mfma_f32_16x16x16_bf16 v[192:195], v[112:113], v[146:147], v[192:195]// 00000000A7C0: D3E100C0 07032570
	ds_write_b32 v18, v50 offset:19712                         // 00000000A7C8: D81A4D00 00003212
	v_mfma_f32_16x16x16_bf16 v[196:199], v[114:115], v[146:147], v[196:199]// 00000000A7D0: D3E100C4 07132572
	v_subrev_f32_dpp v81, v150, v81 quad_perm:[1,1,1,1] row_mask:0xf bank_mask:0xf// 00000000A7D8: 06A2A2FA FF005596
	v_subrev_f32_dpp v82, v150, v82 quad_perm:[2,2,2,2] row_mask:0xf bank_mask:0xf// 00000000A7E0: 06A4A4FA FF00AA96
	v_subrev_f32_dpp v83, v150, v83 quad_perm:[3,3,3,3] row_mask:0xf bank_mask:0xf// 00000000A7E8: 06A6A6FA FF00FF96
	v_mfma_f32_16x16x16_bf16 v[200:203], v[116:117], v[146:147], v[200:203]// 00000000A7F0: D3E100C8 07232574
	v_mul_f32_e32 v78, v54, v78                                // 00000000A7F8: 0A9C9D36
	v_mul_f32_e32 v79, v55, v79                                // 00000000A7FC: 0A9E9F37
	v_mul_f32_e32 v80, v56, v80                                // 00000000A800: 0AA0A138
	v_mfma_f32_16x16x16_bf16 v[204:207], v[118:119], v[146:147], v[204:207]// 00000000A804: D3E100CC 07332576
	v_mul_f32_e32 v81, v57, v81                                // 00000000A80C: 0AA2A339
	v_mul_f32_e32 v82, v58, v82                                // 00000000A810: 0AA4A53A
	v_mul_f32_e32 v83, v59, v83                                // 00000000A814: 0AA6A73B
	v_mfma_f32_16x16x16_bf16 v[208:211], v[120:121], v[146:147], v[208:211]// 00000000A818: D3E100D0 07432578
	v_cmp_u_f32_e64 s[74:75], v78, v78                         // 00000000A820: D048004A 00029D4E
	v_add3_u32 v248, v78, v251, 1                              // 00000000A828: D1FF00F8 0207F74E
	v_cndmask_b32_e64 v28, v248, v250, s[74:75]                // 00000000A830: D100001C 012BF5F8
	v_cmp_u_f32_e64 s[74:75], v79, v79                         // 00000000A838: D048004A 00029F4F
	v_add3_u32 v248, v79, v251, 1                              // 00000000A840: D1FF00F8 0207F74F
	v_cndmask_b32_e64 v29, v248, v250, s[74:75]                // 00000000A848: D100001D 012BF5F8
	v_perm_b32 v75, v29, v28, s64                              // 00000000A850: D1ED004B 0102391D
	v_cmp_u_f32_e64 s[74:75], v80, v80                         // 00000000A858: D048004A 0002A150
	v_add3_u32 v248, v80, v251, 1                              // 00000000A860: D1FF00F8 0207F750
	v_cndmask_b32_e64 v28, v248, v250, s[74:75]                // 00000000A868: D100001C 012BF5F8
	v_cmp_u_f32_e64 s[74:75], v81, v81                         // 00000000A870: D048004A 0002A351
	v_add3_u32 v248, v81, v251, 1                              // 00000000A878: D1FF00F8 0207F751
	v_cndmask_b32_e64 v29, v248, v250, s[74:75]                // 00000000A880: D100001D 012BF5F8
	v_perm_b32 v76, v29, v28, s64                              // 00000000A888: D1ED004C 0102391D
	v_cmp_u_f32_e64 s[74:75], v82, v82                         // 00000000A890: D048004A 0002A552
	v_add3_u32 v248, v82, v251, 1                              // 00000000A898: D1FF00F8 0207F752
	v_cndmask_b32_e64 v28, v248, v250, s[74:75]                // 00000000A8A0: D100001C 012BF5F8
	v_cmp_u_f32_e64 s[74:75], v83, v83                         // 00000000A8A8: D048004A 0002A753
	v_add3_u32 v248, v83, v251, 1                              // 00000000A8B0: D1FF00F8 0207F753
	v_cndmask_b32_e64 v29, v248, v250, s[74:75]                // 00000000A8B8: D100001D 012BF5F8
	v_perm_b32 v77, v29, v28, s64                              // 00000000A8C0: D1ED004D 0102391D
	v_mfma_f32_16x16x16_bf16 v[212:215], v[122:123], v[146:147], v[212:215]// 00000000A8C8: D3E100D4 0753257A
	v_mov_b32_dpp v16, v75 quad_perm:[1,0,3,2] row_mask:0xf bank_mask:0xf// 00000000A8D0: 7E2002FA FF00B14B
	v_perm_b32 v51, v16, v75, v15                              // 00000000A8D8: D1ED0033 043E9710
	v_mov_b32_dpp v16, v76 quad_perm:[1,0,3,2] row_mask:0xf bank_mask:0xf// 00000000A8E0: 7E2002FA FF00B14C
	v_mfma_f32_16x16x16_bf16 v[216:219], v[108:109], v[148:149], v[216:219]// 00000000A8E8: D3E100D8 0763296C
	ds_write_b32 v18, v51 offset:20256                         // 00000000A8F0: D81A4F20 00003312
	v_mfma_f32_16x16x16_bf16 v[220:223], v[110:111], v[148:149], v[220:223]// 00000000A8F8: D3E100DC 0773296E
	v_perm_b32 v52, v16, v76, v15                              // 00000000A900: D1ED0034 043E9910
	v_mov_b32_dpp v16, v77 quad_perm:[1,0,3,2] row_mask:0xf bank_mask:0xf// 00000000A908: 7E2002FA FF00B14D
	v_perm_b32 v53, v16, v77, v15                              // 00000000A910: D1ED0035 043E9B10
	v_mfma_f32_16x16x16_bf16 v[224:227], v[112:113], v[148:149], v[224:227]// 00000000A918: D3E100E0 07832970
	ds_write_b32 v18, v52 offset:22016                         // 00000000A920: D81A5600 00003412
	ds_write_b32 v18, v53 offset:22560                         // 00000000A928: D81A5820 00003512
	v_mfma_f32_16x16x16_bf16 v[228:231], v[114:115], v[148:149], v[228:231]// 00000000A930: D3E100E4 07932972
	v_mfma_f32_16x16x16_bf16 v[232:235], v[116:117], v[148:149], v[232:235]// 00000000A938: D3E100E8 07A32974
	ds_write_b32 v13, v84 offset:4352                          // 00000000A940: D81A1100 0000540D
	ds_write_b32 v13, v85 offset:5408                          // 00000000A948: D81A1520 0000550D
	v_mfma_f32_16x16x16_bf16 v[236:239], v[118:119], v[148:149], v[236:239]// 00000000A950: D3E100EC 07B32976
	v_mfma_f32_16x16x16_bf16 v[240:243], v[120:121], v[148:149], v[240:243]// 00000000A958: D3E100F0 07C32978
	ds_write_b32 v13, v86 offset:4480                          // 00000000A960: D81A1180 0000560D
	ds_write_b32 v13, v87 offset:5536                          // 00000000A968: D81A15A0 0000570D
	v_mfma_f32_16x16x16_bf16 v[244:247], v[122:123], v[148:149], v[244:247]// 00000000A970: D3E100F4 07D3297A
	s_nop 0                                                    // 00000000A978: BF800000
	s_nop 0                                                    // 00000000A97C: BF800000
	s_nop 0                                                    // 00000000A980: BF800000
	s_barrier                                                  // 00000000A984: BF8A0000
	v_mfma_f32_16x16x16_bf16 a[160:163], a[144:145], v[72:73], a[160:163]// 00000000A988: D3E180A0 0E829190
	ds_read_b32 v124, v21 offset:50688                         // 00000000A990: D86CC600 7C000015
	ds_read_b32 v150, v21 offset:50944                         // 00000000A998: D86CC700 96000015
	v_mfma_f32_16x16x16_bf16 a[164:167], a[146:147], v[72:73], a[164:167]// 00000000A9A0: D3E180A4 0E929192
	buffer_atomic_add_f32 v136, v7, s[32:35], 0 offen          // 00000000A9A8: E1341000 80088807
	v_mfma_f32_16x16x16_bf16 a[168:171], a[148:149], v[72:73], a[168:171]// 00000000A9B0: D3E180A8 0EA29194
	s_waitcnt lgkmcnt(6)                                       // 00000000A9B8: BF8CC67F
	s_barrier                                                  // 00000000A9BC: BF8A0000
	v_mfma_f32_16x16x16_bf16 a[172:175], a[150:151], v[72:73], a[172:175]// 00000000A9C0: D3E180AC 0EB29196
	v_mfma_f32_16x16x16_bf16 a[176:179], a[152:153], v[72:73], a[176:179]// 00000000A9C8: D3E180B0 0EC29198
	ds_read_b128 v[48:51], v17 offset:17408                    // 00000000A9D0: D9FE4400 30000011
	v_mfma_f32_16x16x16_bf16 a[180:183], a[154:155], v[72:73], a[180:183]// 00000000A9D8: D3E180B4 0ED2919A
	v_mfma_f32_16x16x16_bf16 a[184:187], a[156:157], v[72:73], a[184:187]// 00000000A9E0: D3E180B8 0EE2919C
	ds_read_b128 v[52:55], v17 offset:18560                    // 00000000A9E8: D9FE4880 34000011
	v_mfma_f32_16x16x16_bf16 a[188:191], a[158:159], v[72:73], a[188:191]// 00000000A9F0: D3E180BC 0EF2919E
	buffer_atomic_add_f32 v137, v8, s[32:35], 0 offen          // 00000000A9F8: E1341000 80088908
	v_mfma_f32_16x16x16_bf16 a[192:195], a[144:145], v[74:75], a[192:195]// 00000000AA00: D3E180C0 0F029590
	ds_read_b128 v[56:59], v17 offset:19712                    // 00000000AA08: D9FE4D00 38000011
	v_mfma_f32_16x16x16_bf16 a[196:199], a[146:147], v[74:75], a[196:199]// 00000000AA10: D3E180C4 0F129592
	v_mfma_f32_16x16x16_bf16 a[200:203], a[148:149], v[74:75], a[200:203]// 00000000AA18: D3E180C8 0F229594
	ds_read_b128 v[60:63], v17 offset:20864                    // 00000000AA20: D9FE5180 3C000011
	v_mfma_f32_16x16x16_bf16 a[204:207], a[150:151], v[74:75], a[204:207]// 00000000AA28: D3E180CC 0F329596
	v_mfma_f32_16x16x16_bf16 a[208:211], a[152:153], v[74:75], a[208:211]// 00000000AA30: D3E180D0 0F429598
	ds_read_b128 v[64:67], v17 offset:22016                    // 00000000AA38: D9FE5600 40000011
	v_mfma_f32_16x16x16_bf16 a[212:215], a[154:155], v[74:75], a[212:215]// 00000000AA40: D3E180D4 0F52959A
	buffer_atomic_add_f32 v138, v7, s[32:35], 0 offen offset:128// 00000000AA48: E1341080 80088A07
	v_mfma_f32_16x16x16_bf16 a[216:219], a[156:157], v[74:75], a[216:219]// 00000000AA50: D3E180D8 0F62959C
	ds_read_b128 v[68:71], v17 offset:23168                    // 00000000AA58: D9FE5A80 44000011
	v_mfma_f32_16x16x16_bf16 a[220:223], a[158:159], v[74:75], a[220:223]// 00000000AA60: D3E180DC 0F72959E
	v_mfma_f32_16x16x16_bf16 a[224:227], a[144:145], v[76:77], a[224:227]// 00000000AA68: D3E180E0 0F829990
	ds_write_b32 v13, v88 offset:13056                         // 00000000AA70: D81A3300 0000580D
	v_mfma_f32_16x16x16_bf16 a[228:231], a[146:147], v[76:77], a[228:231]// 00000000AA78: D3E180E4 0F929992
	v_mfma_f32_16x16x16_bf16 a[232:235], a[148:149], v[76:77], a[232:235]// 00000000AA80: D3E180E8 0FA29994
	ds_write_b32 v13, v89 offset:14112                         // 00000000AA88: D81A3720 0000590D
	v_mfma_f32_16x16x16_bf16 a[236:239], a[150:151], v[76:77], a[236:239]// 00000000AA90: D3E180EC 0FB29996
	buffer_atomic_add_f32 v139, v8, s[32:35], 0 offen offset:128// 00000000AA98: E1341080 80088B08
	v_mfma_f32_16x16x16_bf16 a[240:243], a[152:153], v[76:77], a[240:243]// 00000000AAA0: D3E180F0 0FC29998
	ds_write_b32 v13, v90 offset:13184                         // 00000000AAA8: D81A3380 00005A0D
	v_mfma_f32_16x16x16_bf16 a[244:247], a[154:155], v[76:77], a[244:247]// 00000000AAB0: D3E180F4 0FD2999A
	v_mfma_f32_16x16x16_bf16 a[248:251], a[156:157], v[76:77], a[248:251]// 00000000AAB8: D3E180F8 0FE2999C
	ds_write_b32 v13, v91 offset:14240                         // 00000000AAC0: D81A37A0 00005B0D
	v_mfma_f32_16x16x16_bf16 a[252:255], a[158:159], v[76:77], a[252:255]// 00000000AAC8: D3E180FC 0FF2999E
	s_waitcnt vmcnt(8) lgkmcnt(4)                              // 00000000AAD0: BF8C0478
	s_barrier                                                  // 00000000AAD4: BF8A0000
	v_mfma_f32_16x16x16_bf16 v[128:131], v[48:49], a[48:49], 0 // 00000000AAD8: D3E10080 12026130
	ds_read_b128 a[144:147], v10                               // 00000000AAE0: DBFE0000 9000000A
	v_mov_b32_e32 v32, 0                                       // 00000000AAE8: 7E400280
	s_mov_b64 exec, s[88:89]                                   // 00000000AAEC: BEFE0158
	buffer_load_dword v32, v1, s[8:11], 0 idxen                // 00000000AAF0: E0502000 80022001
	s_mov_b64 exec, s[86:87]                                   // 00000000AAF8: BEFE0156
	v_mfma_f32_16x16x16_bf16 v[128:131], v[50:51], a[52:53], v[128:131]// 00000000AAFC: D3E10080 16026932
	v_cmp_eq_u32_e32 vcc, v124, v151                           // 00000000AB04: 7D952F7C
	v_mov_b32_e32 v28, 0                                       // 00000000AB08: 7E380280
	v_cndmask_b32_e32 v124, v124, v28, vcc                     // 00000000AB0C: 00F8397C
	v_mul_f32_e32 v124, s48, v124                              // 00000000AB10: 0AF8F830
	s_nop 0                                                    // 00000000AB14: BF800000
	v_mfma_f32_16x16x16_bf16 v[128:131], v[52:53], a[56:57], v[128:131]// 00000000AB18: D3E10080 16027134
	ds_read_b128 a[148:151], v10 offset:512                    // 00000000AB20: DBFE0200 9400000A
	v_mov_b32_e32 v33, 0                                       // 00000000AB28: 7E420280
	s_mov_b64 exec, s[88:89]                                   // 00000000AB2C: BEFE0158
	buffer_load_dword v33, v2, s[8:11], 0 idxen                // 00000000AB30: E0502000 80022102
	s_mov_b64 exec, s[86:87]                                   // 00000000AB38: BEFE0156
	v_mfma_f32_16x16x16_bf16 v[128:131], v[54:55], a[60:61], v[128:131]// 00000000AB3C: D3E10080 16027936
	v_mfma_f32_16x16x16_bf16 v[128:131], v[56:57], a[64:65], v[128:131]// 00000000AB44: D3E10080 16028138
	ds_read_b128 a[152:155], v10 offset:2176                   // 00000000AB4C: DBFE0880 9800000A
	v_mov_b32_e32 v34, 0                                       // 00000000AB54: 7E440280
	s_mov_b64 exec, s[88:89]                                   // 00000000AB58: BEFE0158
	buffer_load_dword v34, v3, s[8:11], 0 idxen                // 00000000AB5C: E0502000 80022203
	s_mov_b64 exec, s[86:87]                                   // 00000000AB64: BEFE0156
	v_mfma_f32_16x16x16_bf16 v[128:131], v[58:59], a[68:69], v[128:131]// 00000000AB68: D3E10080 1602893A
	v_perm_b32 v84, v37, v36, s63                              // 00000000AB70: D1ED0054 00FE4925
	v_perm_b32 v85, v37, v36, s64                              // 00000000AB78: D1ED0055 01024925
	v_mfma_f32_16x16x16_bf16 v[128:131], v[60:61], a[72:73], v[128:131]// 00000000AB80: D3E10080 1602913C
	ds_read_b128 a[156:159], v10 offset:2688                   // 00000000AB88: DBFE0A80 9C00000A
	v_mov_b32_e32 v35, 0                                       // 00000000AB90: 7E460280
	s_mov_b64 exec, s[88:89]                                   // 00000000AB94: BEFE0158
	buffer_load_dword v35, v4, s[8:11], 0 idxen                // 00000000AB98: E0502000 80022304
	s_mov_b64 exec, s[86:87]                                   // 00000000ABA0: BEFE0156
	v_mfma_f32_16x16x16_bf16 v[128:131], v[62:63], a[76:77], v[128:131]// 00000000ABA4: D3E10080 1602993E
	v_perm_b32 v86, v39, v38, s63                              // 00000000ABAC: D1ED0056 00FE4D27
	v_perm_b32 v87, v39, v38, s64                              // 00000000ABB4: D1ED0057 01024D27
	v_mfma_f32_16x16x16_bf16 v[128:131], v[64:65], a[80:81], v[128:131]// 00000000ABBC: D3E10080 1602A140
	ds_read_b128 v[92:95], v10 offset:8704                     // 00000000ABC4: D9FE2200 5C00000A
	v_mov_b32_e32 v40, 0                                       // 00000000ABCC: 7E500280
	s_mov_b64 exec, s[88:89]                                   // 00000000ABD0: BEFE0158
	buffer_load_dword v40, v252, s[20:23], 0 idxen             // 00000000ABD4: E0502000 800528FC
	s_mov_b64 exec, s[86:87]                                   // 00000000ABDC: BEFE0156
	v_mfma_f32_16x16x16_bf16 v[128:131], v[66:67], a[84:85], v[128:131]// 00000000ABE0: D3E10080 1602A942
	v_perm_b32 v88, v45, v44, s63                              // 00000000ABE8: D1ED0058 00FE592D
	v_perm_b32 v89, v45, v44, s64                              // 00000000ABF0: D1ED0059 0102592D
	v_mfma_f32_16x16x16_bf16 v[128:131], v[68:69], a[88:89], v[128:131]// 00000000ABF8: D3E10080 1602B144
	ds_read_b128 v[96:99], v10 offset:9216                     // 00000000AC00: D9FE2400 6000000A
	v_mov_b32_e32 v41, 0                                       // 00000000AC08: 7E520280
	s_mov_b64 exec, s[88:89]                                   // 00000000AC0C: BEFE0158
	buffer_load_dword v41, v253, s[20:23], 0 idxen             // 00000000AC10: E0502000 800529FD
	s_mov_b64 exec, s[86:87]                                   // 00000000AC18: BEFE0156
	v_mfma_f32_16x16x16_bf16 v[128:131], v[70:71], a[92:93], v[128:131]// 00000000AC1C: D3E10080 1602B946
	v_perm_b32 v90, v47, v46, s63                              // 00000000AC24: D1ED005A 00FE5D2F
	v_perm_b32 v91, v47, v46, s64                              // 00000000AC2C: D1ED005B 01025D2F
	v_mfma_f32_16x16x16_bf16 v[132:135], v[48:49], a[50:51], 0 // 00000000AC34: D3E10084 12026530
	ds_read_b128 v[100:103], v10 offset:10880                  // 00000000AC3C: D9FE2A80 6400000A
	v_mov_b32_e32 v42, 0                                       // 00000000AC44: 7E540280
	s_mov_b64 exec, s[88:89]                                   // 00000000AC48: BEFE0158
	buffer_load_dword v42, v254, s[20:23], 0 idxen             // 00000000AC4C: E0502000 80052AFE
	s_mov_b64 exec, s[86:87]                                   // 00000000AC54: BEFE0156
	v_mfma_f32_16x16x16_bf16 v[132:135], v[50:51], a[54:55], v[132:135]// 00000000AC58: D3E10084 16126D32
	v_mov_b32_dpp v127, v124 quad_perm:[3,3,3,3] row_mask:0xf bank_mask:0xf// 00000000AC60: 7EFE02FA FF00FF7C
	v_mov_b32_dpp v126, v124 quad_perm:[2,2,2,2] row_mask:0xf bank_mask:0xf// 00000000AC68: 7EFC02FA FF00AA7C
	v_mfma_f32_16x16x16_bf16 v[132:135], v[52:53], a[58:59], v[132:135]// 00000000AC70: D3E10084 16127534
	ds_read_b128 v[104:107], v10 offset:11392                  // 00000000AC78: D9FE2C80 6800000A
	v_mov_b32_e32 v43, 0                                       // 00000000AC80: 7E560280
	s_mov_b64 exec, s[88:89]                                   // 00000000AC84: BEFE0158
	buffer_load_dword v43, v255, s[20:23], 0 idxen             // 00000000AC88: E0502000 80052BFF
	s_mov_b64 exec, s[86:87]                                   // 00000000AC90: BEFE0156
	v_mfma_f32_16x16x16_bf16 v[132:135], v[54:55], a[62:63], v[132:135]// 00000000AC94: D3E10084 16127D36
	v_mov_b32_dpp v125, v124 quad_perm:[1,1,1,1] row_mask:0xf bank_mask:0xf// 00000000AC9C: 7EFA02FA FF00557C
	v_mov_b32_dpp v124, v124 quad_perm:[0,0,0,0] row_mask:0xf bank_mask:0xf// 00000000ACA4: 7EF802FA FF00007C
	s_add_u32 s60, 64, s59                                     // 00000000ACAC: 803C3BC0
	v_mfma_f32_16x16x16_bf16 v[132:135], v[56:57], a[66:67], v[132:135]// 00000000ACB0: D3E10084 16128538
	buffer_load_dword v9, s[24:27], 0 idxen lds                // 00000000ACB8: E0512000 80060009
	v_mfma_f32_16x16x16_bf16 v[132:135], v[58:59], a[70:71], v[132:135]// 00000000ACC0: D3E10084 16128D3A
	s_cmp_lt_u32 s60, s58                                      // 00000000ACC8: BF0A3A3C
	s_cselect_b32 s68, s68, 0                                  // 00000000ACCC: 85448044
	s_cselect_b32 s97, s97, 0                                  // 00000000ACD0: 85618061
	s_cselect_b32 s69, s69, 0                                  // 00000000ACD4: 85458045
	v_mfma_f32_16x16x16_bf16 v[132:135], v[60:61], a[74:75], v[132:135]// 00000000ACD8: D3E10084 1612953C
	v_add_u32_e32 v1, s68, v1                                  // 00000000ACE0: 68020244
	v_add_u32_e32 v2, s68, v2                                  // 00000000ACE4: 68040444
	v_add_u32_e32 v3, s68, v3                                  // 00000000ACE8: 68060644
	v_add_u32_e32 v4, s68, v4                                  // 00000000ACEC: 68080844
	v_mfma_f32_16x16x16_bf16 v[132:135], v[62:63], a[78:79], v[132:135]// 00000000ACF0: D3E10084 16129D3E
	v_add_u32_e32 v252, s97, v252                              // 00000000ACF8: 69F9F861
	v_add_u32_e32 v253, s97, v253                              // 00000000ACFC: 69FBFA61
	v_add_u32_e32 v254, s97, v254                              // 00000000AD00: 69FDFC61
	v_add_u32_e32 v255, s97, v255                              // 00000000AD04: 69FFFE61
	v_mfma_f32_16x16x16_bf16 v[132:135], v[64:65], a[82:83], v[132:135]// 00000000AD08: D3E10084 1612A540
	s_mov_b32 m0, s77                                          // 00000000AD10: BEFC004D
	v_add_u32_e32 v9, s69, v9                                  // 00000000AD14: 68121245
	v_mfma_f32_16x16x16_bf16 v[132:135], v[66:67], a[86:87], v[132:135]// 00000000AD18: D3E10084 1612AD42
	s_cmp_ge_u32 s59, s101                                     // 00000000AD20: BF09653B
	s_cselect_b32 s66, s67, s66                                // 00000000AD24: 85424243
	v_mfma_f32_16x16x16_bf16 v[132:135], v[68:69], a[90:91], v[132:135]// 00000000AD28: D3E10084 1612B544
	s_addk_i32 s59, 0x10                                       // 00000000AD30: B73B0010
	s_nop 0                                                    // 00000000AD34: BF800000
	s_cmp_lt_i32 s59, s58                                      // 00000000AD38: BF043A3B
	v_mfma_f32_16x16x16_bf16 v[132:135], v[70:71], a[94:95], v[132:135]// 00000000AD3C: D3E10084 1612BD46
	s_cbranch_scc0 label_12E9                                  // 00000000AD44: BF84F70B
	s_branch label_12EC                                        // 00000000AD48: BF82F70D

000000000000ad4c <label_1BEB>:
	buffer_atomic_add_f32 v140, v7, s[32:35], 0 offen offset:256// 00000000AD4C: E1341100 80088C07
	buffer_atomic_add_f32 v141, v8, s[32:35], 0 offen offset:256// 00000000AD54: E1341100 80088D08
	buffer_atomic_add_f32 v142, v7, s[32:35], 0 offen offset:384// 00000000AD5C: E1341180 80088E07
	buffer_atomic_add_f32 v143, v8, s[32:35], 0 offen offset:384// 00000000AD64: E1341180 80088F08
	v_add_u32_e32 v7, s66, v7                                  // 00000000AD6C: 680E0E42
	v_add_u32_e32 v8, s66, v8                                  // 00000000AD70: 68101042
	v_lshrrev_b32_e32 v28, 5, v0                               // 00000000AD74: 20380085
	v_mul_i32_i24_e32 v25, 0x42, v28                           // 00000000AD78: 0C3238FF 00000042
	v_and_b32_e32 v28, 31, v0                                  // 00000000AD80: 2638009F
	v_mul_i32_i24_e32 v29, 2, v28                              // 00000000AD84: 0C3A3882
	v_add_u32_e32 v25, v29, v25                                // 00000000AD88: 6832331D
	s_mul_i32 s60, s46, 0x420                                  // 00000000AD8C: 923CFF2E 00000420
	v_add_u32_e32 v25, s60, v25                                // 00000000AD94: 6832323C
	v_lshlrev_b32_e32 v25, 2, v25                              // 00000000AD98: 24323282
	v_mul_f32_e32 v128, s47, v128                              // 00000000AD9C: 0B01002F
	v_mul_f32_e32 v129, s47, v129                              // 00000000ADA0: 0B03022F
	v_mul_f32_e32 v130, s47, v130                              // 00000000ADA4: 0B05042F
	v_mul_f32_e32 v131, s47, v131                              // 00000000ADA8: 0B07062F
	v_mul_f32_e32 v132, s47, v132                              // 00000000ADAC: 0B09082F
	v_mul_f32_e32 v133, s47, v133                              // 00000000ADB0: 0B0B0A2F
	v_mul_f32_e32 v134, s47, v134                              // 00000000ADB4: 0B0D0C2F
	v_mul_f32_e32 v135, s47, v135                              // 00000000ADB8: 0B0F0E2F
	ds_write_b64 v20, v[128:129] offset:24320                  // 00000000ADBC: D89A5F00 00008014
	ds_write_b64 v20, v[130:131] offset:24832                  // 00000000ADC4: D89A6100 00008214
	ds_write_b64 v20, v[132:133] offset:25344                  // 00000000ADCC: D89A6300 00008414
	ds_write_b64 v20, v[134:135] offset:25856                  // 00000000ADD4: D89A6500 00008614
	s_waitcnt lgkmcnt(0)                                       // 00000000ADDC: BF8CC07F
	s_barrier                                                  // 00000000ADE0: BF8A0000
	ds_read_b64 v[136:137], v19 offset:24320                   // 00000000ADE4: D8EC5F00 88000013
	ds_read_b64 v[138:139], v19 offset:26368                   // 00000000ADEC: D8EC6700 8A000013
	ds_read_b64 v[140:141], v19 offset:28416                   // 00000000ADF4: D8EC6F00 8C000013
	ds_read_b64 v[142:143], v19 offset:30464                   // 00000000ADFC: D8EC7700 8E000013
	s_waitcnt lgkmcnt(0)                                       // 00000000AE04: BF8CC07F
	s_barrier                                                  // 00000000AE08: BF8A0000
	buffer_atomic_add_f32 v136, v7, s[32:35], 0 offen          // 00000000AE0C: E1341000 80088807
	buffer_atomic_add_f32 v137, v8, s[32:35], 0 offen          // 00000000AE14: E1341000 80088908
	buffer_atomic_add_f32 v138, v7, s[32:35], 0 offen offset:128// 00000000AE1C: E1341080 80088A07
	buffer_atomic_add_f32 v139, v8, s[32:35], 0 offen offset:128// 00000000AE24: E1341080 80088B08
	buffer_atomic_add_f32 v140, v7, s[32:35], 0 offen offset:256// 00000000AE2C: E1341100 80088C07
	buffer_atomic_add_f32 v141, v8, s[32:35], 0 offen offset:256// 00000000AE34: E1341100 80088D08
	buffer_atomic_add_f32 v142, v7, s[32:35], 0 offen offset:384// 00000000AE3C: E1341180 80088E07
	buffer_atomic_add_f32 v143, v8, s[32:35], 0 offen offset:384// 00000000AE44: E1341180 80088F08
	v_lshrrev_b32_e32 v28, 4, v0                               // 00000000AE4C: 20380084
	v_mul_i32_i24_e32 v24, 2, v28                              // 00000000AE50: 0C303882
	v_and_b32_e32 v28, 15, v0                                  // 00000000AE54: 2638008F
	v_mul_i32_i24_e32 v29, 0x42, v28                           // 00000000AE58: 0C3A38FF 00000042
	v_add_u32_e32 v24, v29, v24                                // 00000000AE60: 6830311D
	s_mul_i32 s60, s46, 0x420                                  // 00000000AE64: 923CFF2E 00000420
	v_add_u32_e32 v24, s60, v24                                // 00000000AE6C: 6830303C
	v_lshlrev_b32_e32 v24, 2, v24                              // 00000000AE70: 24303082
	v_accvgpr_read_b32 v30, a160                               // 00000000AE74: D3D8401E 180001A0
	v_accvgpr_read_b32 v31, a161                               // 00000000AE7C: D3D8401F 180001A1
	v_mul_f32_e32 v30, s47, v30                                // 00000000AE84: 0A3C3C2F
	v_mul_f32_e32 v31, s47, v31                                // 00000000AE88: 0A3E3E2F
	v_cmp_u_f32_e64 s[74:75], v30, v30                         // 00000000AE8C: D048004A 00023D1E
	v_bfe_u32 v248, v30, 16, 1                                 // 00000000AE94: D1C800F8 0205211E
	v_add3_u32 v248, v30, v248, v251                           // 00000000AE9C: D1FF00F8 07EFF11E
	v_cndmask_b32_e64 v28, v248, v250, s[74:75]                // 00000000AEA4: D100001C 012BF5F8
	v_lshrrev_b32_e32 v28, 16, v28                             // 00000000AEAC: 20383890
	v_cmp_u_f32_e64 s[74:75], v31, v31                         // 00000000AEB0: D048004A 00023F1F
	v_bfe_u32 v248, v31, 16, 1                                 // 00000000AEB8: D1C800F8 0205211F
	v_add3_u32 v248, v31, v248, v251                           // 00000000AEC0: D1FF00F8 07EFF11F
	v_cndmask_b32_e64 v29, v248, v250, s[74:75]                // 00000000AEC8: D100001D 012BF5F8
	v_and_or_b32 v48, v29, v249, v28                           // 00000000AED0: D2010030 0473F31D
	v_accvgpr_read_b32 v30, a162                               // 00000000AED8: D3D8401E 180001A2
	v_accvgpr_read_b32 v31, a163                               // 00000000AEE0: D3D8401F 180001A3
	v_mul_f32_e32 v30, s47, v30                                // 00000000AEE8: 0A3C3C2F
	v_mul_f32_e32 v31, s47, v31                                // 00000000AEEC: 0A3E3E2F
	v_cmp_u_f32_e64 s[74:75], v30, v30                         // 00000000AEF0: D048004A 00023D1E
	v_bfe_u32 v248, v30, 16, 1                                 // 00000000AEF8: D1C800F8 0205211E
	v_add3_u32 v248, v30, v248, v251                           // 00000000AF00: D1FF00F8 07EFF11E
	v_cndmask_b32_e64 v28, v248, v250, s[74:75]                // 00000000AF08: D100001C 012BF5F8
	v_lshrrev_b32_e32 v28, 16, v28                             // 00000000AF10: 20383890
	v_cmp_u_f32_e64 s[74:75], v31, v31                         // 00000000AF14: D048004A 00023F1F
	v_bfe_u32 v248, v31, 16, 1                                 // 00000000AF1C: D1C800F8 0205211F
	v_add3_u32 v248, v31, v248, v251                           // 00000000AF24: D1FF00F8 07EFF11F
	v_cndmask_b32_e64 v29, v248, v250, s[74:75]                // 00000000AF2C: D100001D 012BF5F8
	v_and_or_b32 v49, v29, v249, v28                           // 00000000AF34: D2010031 0473F31D
	v_accvgpr_read_b32 v30, a164                               // 00000000AF3C: D3D8401E 180001A4
	v_accvgpr_read_b32 v31, a165                               // 00000000AF44: D3D8401F 180001A5
	v_mul_f32_e32 v30, s47, v30                                // 00000000AF4C: 0A3C3C2F
	v_mul_f32_e32 v31, s47, v31                                // 00000000AF50: 0A3E3E2F
	v_cmp_u_f32_e64 s[74:75], v30, v30                         // 00000000AF54: D048004A 00023D1E
	v_bfe_u32 v248, v30, 16, 1                                 // 00000000AF5C: D1C800F8 0205211E
	v_add3_u32 v248, v30, v248, v251                           // 00000000AF64: D1FF00F8 07EFF11E
	v_cndmask_b32_e64 v28, v248, v250, s[74:75]                // 00000000AF6C: D100001C 012BF5F8
	v_lshrrev_b32_e32 v28, 16, v28                             // 00000000AF74: 20383890
	v_cmp_u_f32_e64 s[74:75], v31, v31                         // 00000000AF78: D048004A 00023F1F
	v_bfe_u32 v248, v31, 16, 1                                 // 00000000AF80: D1C800F8 0205211F
	v_add3_u32 v248, v31, v248, v251                           // 00000000AF88: D1FF00F8 07EFF11F
	v_cndmask_b32_e64 v29, v248, v250, s[74:75]                // 00000000AF90: D100001D 012BF5F8
	v_and_or_b32 v50, v29, v249, v28                           // 00000000AF98: D2010032 0473F31D
	v_accvgpr_read_b32 v30, a166                               // 00000000AFA0: D3D8401E 180001A6
	v_accvgpr_read_b32 v31, a167                               // 00000000AFA8: D3D8401F 180001A7
	v_mul_f32_e32 v30, s47, v30                                // 00000000AFB0: 0A3C3C2F
	v_mul_f32_e32 v31, s47, v31                                // 00000000AFB4: 0A3E3E2F
	v_cmp_u_f32_e64 s[74:75], v30, v30                         // 00000000AFB8: D048004A 00023D1E
	v_bfe_u32 v248, v30, 16, 1                                 // 00000000AFC0: D1C800F8 0205211E
	v_add3_u32 v248, v30, v248, v251                           // 00000000AFC8: D1FF00F8 07EFF11E
	v_cndmask_b32_e64 v28, v248, v250, s[74:75]                // 00000000AFD0: D100001C 012BF5F8
	v_lshrrev_b32_e32 v28, 16, v28                             // 00000000AFD8: 20383890
	v_cmp_u_f32_e64 s[74:75], v31, v31                         // 00000000AFDC: D048004A 00023F1F
	v_bfe_u32 v248, v31, 16, 1                                 // 00000000AFE4: D1C800F8 0205211F
	v_add3_u32 v248, v31, v248, v251                           // 00000000AFEC: D1FF00F8 07EFF11F
	v_cndmask_b32_e64 v29, v248, v250, s[74:75]                // 00000000AFF4: D100001D 012BF5F8
	v_and_or_b32 v51, v29, v249, v28                           // 00000000AFFC: D2010033 0473F31D
	v_accvgpr_read_b32 v30, a168                               // 00000000B004: D3D8401E 180001A8
	v_accvgpr_read_b32 v31, a169                               // 00000000B00C: D3D8401F 180001A9
	v_mul_f32_e32 v30, s47, v30                                // 00000000B014: 0A3C3C2F
	v_mul_f32_e32 v31, s47, v31                                // 00000000B018: 0A3E3E2F
	v_cmp_u_f32_e64 s[74:75], v30, v30                         // 00000000B01C: D048004A 00023D1E
	v_bfe_u32 v248, v30, 16, 1                                 // 00000000B024: D1C800F8 0205211E
	v_add3_u32 v248, v30, v248, v251                           // 00000000B02C: D1FF00F8 07EFF11E
	v_cndmask_b32_e64 v28, v248, v250, s[74:75]                // 00000000B034: D100001C 012BF5F8
	v_lshrrev_b32_e32 v28, 16, v28                             // 00000000B03C: 20383890
	v_cmp_u_f32_e64 s[74:75], v31, v31                         // 00000000B040: D048004A 00023F1F
	v_bfe_u32 v248, v31, 16, 1                                 // 00000000B048: D1C800F8 0205211F
	v_add3_u32 v248, v31, v248, v251                           // 00000000B050: D1FF00F8 07EFF11F
	v_cndmask_b32_e64 v29, v248, v250, s[74:75]                // 00000000B058: D100001D 012BF5F8
	v_and_or_b32 v52, v29, v249, v28                           // 00000000B060: D2010034 0473F31D
	v_accvgpr_read_b32 v30, a170                               // 00000000B068: D3D8401E 180001AA
	v_accvgpr_read_b32 v31, a171                               // 00000000B070: D3D8401F 180001AB
	v_mul_f32_e32 v30, s47, v30                                // 00000000B078: 0A3C3C2F
	v_mul_f32_e32 v31, s47, v31                                // 00000000B07C: 0A3E3E2F
	v_cmp_u_f32_e64 s[74:75], v30, v30                         // 00000000B080: D048004A 00023D1E
	v_bfe_u32 v248, v30, 16, 1                                 // 00000000B088: D1C800F8 0205211E
	v_add3_u32 v248, v30, v248, v251                           // 00000000B090: D1FF00F8 07EFF11E
	v_cndmask_b32_e64 v28, v248, v250, s[74:75]                // 00000000B098: D100001C 012BF5F8
	v_lshrrev_b32_e32 v28, 16, v28                             // 00000000B0A0: 20383890
	v_cmp_u_f32_e64 s[74:75], v31, v31                         // 00000000B0A4: D048004A 00023F1F
	v_bfe_u32 v248, v31, 16, 1                                 // 00000000B0AC: D1C800F8 0205211F
	v_add3_u32 v248, v31, v248, v251                           // 00000000B0B4: D1FF00F8 07EFF11F
	v_cndmask_b32_e64 v29, v248, v250, s[74:75]                // 00000000B0BC: D100001D 012BF5F8
	v_and_or_b32 v53, v29, v249, v28                           // 00000000B0C4: D2010035 0473F31D
	v_accvgpr_read_b32 v30, a172                               // 00000000B0CC: D3D8401E 180001AC
	v_accvgpr_read_b32 v31, a173                               // 00000000B0D4: D3D8401F 180001AD
	v_mul_f32_e32 v30, s47, v30                                // 00000000B0DC: 0A3C3C2F
	v_mul_f32_e32 v31, s47, v31                                // 00000000B0E0: 0A3E3E2F
	v_cmp_u_f32_e64 s[74:75], v30, v30                         // 00000000B0E4: D048004A 00023D1E
	v_bfe_u32 v248, v30, 16, 1                                 // 00000000B0EC: D1C800F8 0205211E
	v_add3_u32 v248, v30, v248, v251                           // 00000000B0F4: D1FF00F8 07EFF11E
	v_cndmask_b32_e64 v28, v248, v250, s[74:75]                // 00000000B0FC: D100001C 012BF5F8
	v_lshrrev_b32_e32 v28, 16, v28                             // 00000000B104: 20383890
	v_cmp_u_f32_e64 s[74:75], v31, v31                         // 00000000B108: D048004A 00023F1F
	v_bfe_u32 v248, v31, 16, 1                                 // 00000000B110: D1C800F8 0205211F
	v_add3_u32 v248, v31, v248, v251                           // 00000000B118: D1FF00F8 07EFF11F
	v_cndmask_b32_e64 v29, v248, v250, s[74:75]                // 00000000B120: D100001D 012BF5F8
	v_and_or_b32 v54, v29, v249, v28                           // 00000000B128: D2010036 0473F31D
	v_accvgpr_read_b32 v30, a174                               // 00000000B130: D3D8401E 180001AE
	v_accvgpr_read_b32 v31, a175                               // 00000000B138: D3D8401F 180001AF
	v_mul_f32_e32 v30, s47, v30                                // 00000000B140: 0A3C3C2F
	v_mul_f32_e32 v31, s47, v31                                // 00000000B144: 0A3E3E2F
	v_cmp_u_f32_e64 s[74:75], v30, v30                         // 00000000B148: D048004A 00023D1E
	v_bfe_u32 v248, v30, 16, 1                                 // 00000000B150: D1C800F8 0205211E
	v_add3_u32 v248, v30, v248, v251                           // 00000000B158: D1FF00F8 07EFF11E
	v_cndmask_b32_e64 v28, v248, v250, s[74:75]                // 00000000B160: D100001C 012BF5F8
	v_lshrrev_b32_e32 v28, 16, v28                             // 00000000B168: 20383890
	v_cmp_u_f32_e64 s[74:75], v31, v31                         // 00000000B16C: D048004A 00023F1F
	v_bfe_u32 v248, v31, 16, 1                                 // 00000000B174: D1C800F8 0205211F
	v_add3_u32 v248, v31, v248, v251                           // 00000000B17C: D1FF00F8 07EFF11F
	v_cndmask_b32_e64 v29, v248, v250, s[74:75]                // 00000000B184: D100001D 012BF5F8
	v_and_or_b32 v55, v29, v249, v28                           // 00000000B18C: D2010037 0473F31D
	v_accvgpr_read_b32 v30, a176                               // 00000000B194: D3D8401E 180001B0
	v_accvgpr_read_b32 v31, a177                               // 00000000B19C: D3D8401F 180001B1
	v_mul_f32_e32 v30, s47, v30                                // 00000000B1A4: 0A3C3C2F
	v_mul_f32_e32 v31, s47, v31                                // 00000000B1A8: 0A3E3E2F
	v_cmp_u_f32_e64 s[74:75], v30, v30                         // 00000000B1AC: D048004A 00023D1E
	v_bfe_u32 v248, v30, 16, 1                                 // 00000000B1B4: D1C800F8 0205211E
	v_add3_u32 v248, v30, v248, v251                           // 00000000B1BC: D1FF00F8 07EFF11E
	v_cndmask_b32_e64 v28, v248, v250, s[74:75]                // 00000000B1C4: D100001C 012BF5F8
	v_lshrrev_b32_e32 v28, 16, v28                             // 00000000B1CC: 20383890
	v_cmp_u_f32_e64 s[74:75], v31, v31                         // 00000000B1D0: D048004A 00023F1F
	v_bfe_u32 v248, v31, 16, 1                                 // 00000000B1D8: D1C800F8 0205211F
	v_add3_u32 v248, v31, v248, v251                           // 00000000B1E0: D1FF00F8 07EFF11F
	v_cndmask_b32_e64 v29, v248, v250, s[74:75]                // 00000000B1E8: D100001D 012BF5F8
	v_and_or_b32 v56, v29, v249, v28                           // 00000000B1F0: D2010038 0473F31D
	v_accvgpr_read_b32 v30, a178                               // 00000000B1F8: D3D8401E 180001B2
	v_accvgpr_read_b32 v31, a179                               // 00000000B200: D3D8401F 180001B3
	v_mul_f32_e32 v30, s47, v30                                // 00000000B208: 0A3C3C2F
	v_mul_f32_e32 v31, s47, v31                                // 00000000B20C: 0A3E3E2F
	v_cmp_u_f32_e64 s[74:75], v30, v30                         // 00000000B210: D048004A 00023D1E
	v_bfe_u32 v248, v30, 16, 1                                 // 00000000B218: D1C800F8 0205211E
	v_add3_u32 v248, v30, v248, v251                           // 00000000B220: D1FF00F8 07EFF11E
	v_cndmask_b32_e64 v28, v248, v250, s[74:75]                // 00000000B228: D100001C 012BF5F8
	v_lshrrev_b32_e32 v28, 16, v28                             // 00000000B230: 20383890
	v_cmp_u_f32_e64 s[74:75], v31, v31                         // 00000000B234: D048004A 00023F1F
	v_bfe_u32 v248, v31, 16, 1                                 // 00000000B23C: D1C800F8 0205211F
	v_add3_u32 v248, v31, v248, v251                           // 00000000B244: D1FF00F8 07EFF11F
	v_cndmask_b32_e64 v29, v248, v250, s[74:75]                // 00000000B24C: D100001D 012BF5F8
	v_and_or_b32 v57, v29, v249, v28                           // 00000000B254: D2010039 0473F31D
	v_accvgpr_read_b32 v30, a180                               // 00000000B25C: D3D8401E 180001B4
	v_accvgpr_read_b32 v31, a181                               // 00000000B264: D3D8401F 180001B5
	v_mul_f32_e32 v30, s47, v30                                // 00000000B26C: 0A3C3C2F
	v_mul_f32_e32 v31, s47, v31                                // 00000000B270: 0A3E3E2F
	v_cmp_u_f32_e64 s[74:75], v30, v30                         // 00000000B274: D048004A 00023D1E
	v_bfe_u32 v248, v30, 16, 1                                 // 00000000B27C: D1C800F8 0205211E
	v_add3_u32 v248, v30, v248, v251                           // 00000000B284: D1FF00F8 07EFF11E
	v_cndmask_b32_e64 v28, v248, v250, s[74:75]                // 00000000B28C: D100001C 012BF5F8
	v_lshrrev_b32_e32 v28, 16, v28                             // 00000000B294: 20383890
	v_cmp_u_f32_e64 s[74:75], v31, v31                         // 00000000B298: D048004A 00023F1F
	v_bfe_u32 v248, v31, 16, 1                                 // 00000000B2A0: D1C800F8 0205211F
	v_add3_u32 v248, v31, v248, v251                           // 00000000B2A8: D1FF00F8 07EFF11F
	v_cndmask_b32_e64 v29, v248, v250, s[74:75]                // 00000000B2B0: D100001D 012BF5F8
	v_and_or_b32 v58, v29, v249, v28                           // 00000000B2B8: D201003A 0473F31D
	v_accvgpr_read_b32 v30, a182                               // 00000000B2C0: D3D8401E 180001B6
	v_accvgpr_read_b32 v31, a183                               // 00000000B2C8: D3D8401F 180001B7
	v_mul_f32_e32 v30, s47, v30                                // 00000000B2D0: 0A3C3C2F
	v_mul_f32_e32 v31, s47, v31                                // 00000000B2D4: 0A3E3E2F
	v_cmp_u_f32_e64 s[74:75], v30, v30                         // 00000000B2D8: D048004A 00023D1E
	v_bfe_u32 v248, v30, 16, 1                                 // 00000000B2E0: D1C800F8 0205211E
	v_add3_u32 v248, v30, v248, v251                           // 00000000B2E8: D1FF00F8 07EFF11E
	v_cndmask_b32_e64 v28, v248, v250, s[74:75]                // 00000000B2F0: D100001C 012BF5F8
	v_lshrrev_b32_e32 v28, 16, v28                             // 00000000B2F8: 20383890
	v_cmp_u_f32_e64 s[74:75], v31, v31                         // 00000000B2FC: D048004A 00023F1F
	v_bfe_u32 v248, v31, 16, 1                                 // 00000000B304: D1C800F8 0205211F
	v_add3_u32 v248, v31, v248, v251                           // 00000000B30C: D1FF00F8 07EFF11F
	v_cndmask_b32_e64 v29, v248, v250, s[74:75]                // 00000000B314: D100001D 012BF5F8
	v_and_or_b32 v59, v29, v249, v28                           // 00000000B31C: D201003B 0473F31D
	v_accvgpr_read_b32 v30, a184                               // 00000000B324: D3D8401E 180001B8
	v_accvgpr_read_b32 v31, a185                               // 00000000B32C: D3D8401F 180001B9
	v_mul_f32_e32 v30, s47, v30                                // 00000000B334: 0A3C3C2F
	v_mul_f32_e32 v31, s47, v31                                // 00000000B338: 0A3E3E2F
	v_cmp_u_f32_e64 s[74:75], v30, v30                         // 00000000B33C: D048004A 00023D1E
	v_bfe_u32 v248, v30, 16, 1                                 // 00000000B344: D1C800F8 0205211E
	v_add3_u32 v248, v30, v248, v251                           // 00000000B34C: D1FF00F8 07EFF11E
	v_cndmask_b32_e64 v28, v248, v250, s[74:75]                // 00000000B354: D100001C 012BF5F8
	v_lshrrev_b32_e32 v28, 16, v28                             // 00000000B35C: 20383890
	v_cmp_u_f32_e64 s[74:75], v31, v31                         // 00000000B360: D048004A 00023F1F
	v_bfe_u32 v248, v31, 16, 1                                 // 00000000B368: D1C800F8 0205211F
	v_add3_u32 v248, v31, v248, v251                           // 00000000B370: D1FF00F8 07EFF11F
	v_cndmask_b32_e64 v29, v248, v250, s[74:75]                // 00000000B378: D100001D 012BF5F8
	v_and_or_b32 v60, v29, v249, v28                           // 00000000B380: D201003C 0473F31D
	v_accvgpr_read_b32 v30, a186                               // 00000000B388: D3D8401E 180001BA
	v_accvgpr_read_b32 v31, a187                               // 00000000B390: D3D8401F 180001BB
	v_mul_f32_e32 v30, s47, v30                                // 00000000B398: 0A3C3C2F
	v_mul_f32_e32 v31, s47, v31                                // 00000000B39C: 0A3E3E2F
	v_cmp_u_f32_e64 s[74:75], v30, v30                         // 00000000B3A0: D048004A 00023D1E
	v_bfe_u32 v248, v30, 16, 1                                 // 00000000B3A8: D1C800F8 0205211E
	v_add3_u32 v248, v30, v248, v251                           // 00000000B3B0: D1FF00F8 07EFF11E
	v_cndmask_b32_e64 v28, v248, v250, s[74:75]                // 00000000B3B8: D100001C 012BF5F8
	v_lshrrev_b32_e32 v28, 16, v28                             // 00000000B3C0: 20383890
	v_cmp_u_f32_e64 s[74:75], v31, v31                         // 00000000B3C4: D048004A 00023F1F
	v_bfe_u32 v248, v31, 16, 1                                 // 00000000B3CC: D1C800F8 0205211F
	v_add3_u32 v248, v31, v248, v251                           // 00000000B3D4: D1FF00F8 07EFF11F
	v_cndmask_b32_e64 v29, v248, v250, s[74:75]                // 00000000B3DC: D100001D 012BF5F8
	v_and_or_b32 v61, v29, v249, v28                           // 00000000B3E4: D201003D 0473F31D
	v_accvgpr_read_b32 v30, a188                               // 00000000B3EC: D3D8401E 180001BC
	v_accvgpr_read_b32 v31, a189                               // 00000000B3F4: D3D8401F 180001BD
	v_mul_f32_e32 v30, s47, v30                                // 00000000B3FC: 0A3C3C2F
	v_mul_f32_e32 v31, s47, v31                                // 00000000B400: 0A3E3E2F
	v_cmp_u_f32_e64 s[74:75], v30, v30                         // 00000000B404: D048004A 00023D1E
	v_bfe_u32 v248, v30, 16, 1                                 // 00000000B40C: D1C800F8 0205211E
	v_add3_u32 v248, v30, v248, v251                           // 00000000B414: D1FF00F8 07EFF11E
	v_cndmask_b32_e64 v28, v248, v250, s[74:75]                // 00000000B41C: D100001C 012BF5F8
	v_lshrrev_b32_e32 v28, 16, v28                             // 00000000B424: 20383890
	v_cmp_u_f32_e64 s[74:75], v31, v31                         // 00000000B428: D048004A 00023F1F
	v_bfe_u32 v248, v31, 16, 1                                 // 00000000B430: D1C800F8 0205211F
	v_add3_u32 v248, v31, v248, v251                           // 00000000B438: D1FF00F8 07EFF11F
	v_cndmask_b32_e64 v29, v248, v250, s[74:75]                // 00000000B440: D100001D 012BF5F8
	v_and_or_b32 v62, v29, v249, v28                           // 00000000B448: D201003E 0473F31D
	v_accvgpr_read_b32 v30, a190                               // 00000000B450: D3D8401E 180001BE
	v_accvgpr_read_b32 v31, a191                               // 00000000B458: D3D8401F 180001BF
	v_mul_f32_e32 v30, s47, v30                                // 00000000B460: 0A3C3C2F
	v_mul_f32_e32 v31, s47, v31                                // 00000000B464: 0A3E3E2F
	v_cmp_u_f32_e64 s[74:75], v30, v30                         // 00000000B468: D048004A 00023D1E
	v_bfe_u32 v248, v30, 16, 1                                 // 00000000B470: D1C800F8 0205211E
	v_add3_u32 v248, v30, v248, v251                           // 00000000B478: D1FF00F8 07EFF11E
	v_cndmask_b32_e64 v28, v248, v250, s[74:75]                // 00000000B480: D100001C 012BF5F8
	v_lshrrev_b32_e32 v28, 16, v28                             // 00000000B488: 20383890
	v_cmp_u_f32_e64 s[74:75], v31, v31                         // 00000000B48C: D048004A 00023F1F
	v_bfe_u32 v248, v31, 16, 1                                 // 00000000B494: D1C800F8 0205211F
	v_add3_u32 v248, v31, v248, v251                           // 00000000B49C: D1FF00F8 07EFF11F
	v_cndmask_b32_e64 v29, v248, v250, s[74:75]                // 00000000B4A4: D100001D 012BF5F8
	v_and_or_b32 v63, v29, v249, v28                           // 00000000B4AC: D201003F 0473F31D
	ds_write_b64 v25, v[48:49]                                 // 00000000B4B4: D89A0000 00003019
	ds_write_b64 v25, v[50:51] offset:528                      // 00000000B4BC: D89A0210 00003219
	ds_write_b64 v25, v[52:53] offset:1056                     // 00000000B4C4: D89A0420 00003419
	ds_write_b64 v25, v[54:55] offset:1584                     // 00000000B4CC: D89A0630 00003619
	ds_write_b64 v25, v[56:57] offset:2112                     // 00000000B4D4: D89A0840 00003819
	ds_write_b64 v25, v[58:59] offset:2640                     // 00000000B4DC: D89A0A50 00003A19
	ds_write_b64 v25, v[60:61] offset:3168                     // 00000000B4E4: D89A0C60 00003C19
	ds_write_b64 v25, v[62:63] offset:3696                     // 00000000B4EC: D89A0E70 00003E19
	s_waitcnt lgkmcnt(0)                                       // 00000000B4F4: BF8CC07F
	s_barrier                                                  // 00000000B4F8: BF8A0000
	ds_read_b64 v[48:49], v24                                  // 00000000B4FC: D8EC0000 30000018
	ds_read_b64 v[50:51], v24 offset:128                       // 00000000B504: D8EC0080 32000018
	ds_read_b64 v[52:53], v24 offset:32                        // 00000000B50C: D8EC0020 34000018
	ds_read_b64 v[54:55], v24 offset:160                       // 00000000B514: D8EC00A0 36000018
	ds_read_b64 v[56:57], v24 offset:64                        // 00000000B51C: D8EC0040 38000018
	ds_read_b64 v[58:59], v24 offset:192                       // 00000000B524: D8EC00C0 3A000018
	ds_read_b64 v[60:61], v24 offset:96                        // 00000000B52C: D8EC0060 3C000018
	ds_read_b64 v[62:63], v24 offset:224                       // 00000000B534: D8EC00E0 3E000018
	s_waitcnt lgkmcnt(0)                                       // 00000000B53C: BF8CC07F
	s_mov_b32 s70, s52                                         // 00000000B540: BEC60034
	s_mov_b64 exec, s[90:91]                                   // 00000000B544: BEFE015A
	buffer_store_dwordx4 v[48:51], v5, s[36:39], 0 idxen       // 00000000B548: E07C2000 80093005
	s_mov_b64 exec, s[86:87]                                   // 00000000B550: BEFE0156
	v_add_u32_e32 v5, s70, v5                                  // 00000000B554: 680A0A46
	s_mov_b64 exec, s[90:91]                                   // 00000000B558: BEFE015A
	buffer_store_dwordx4 v[52:55], v5, s[36:39], 0 idxen       // 00000000B55C: E07C2000 80093405
	s_mov_b64 exec, s[86:87]                                   // 00000000B564: BEFE0156
	v_add_u32_e32 v5, s70, v5                                  // 00000000B568: 680A0A46
	s_mov_b64 exec, s[90:91]                                   // 00000000B56C: BEFE015A
	buffer_store_dwordx4 v[56:59], v5, s[36:39], 0 idxen       // 00000000B570: E07C2000 80093805
	s_mov_b64 exec, s[86:87]                                   // 00000000B578: BEFE0156
	v_add_u32_e32 v5, s70, v5                                  // 00000000B57C: 680A0A46
	s_mov_b64 exec, s[90:91]                                   // 00000000B580: BEFE015A
	buffer_store_dwordx4 v[60:63], v5, s[36:39], 0 idxen       // 00000000B584: E07C2000 80093C05
	s_mov_b64 exec, s[86:87]                                   // 00000000B58C: BEFE0156
	v_add_u32_e32 v5, s70, v5                                  // 00000000B590: 680A0A46
	s_mul_i32 s60, 12, s70                                     // 00000000B594: 923C468C
	v_add_u32_e32 v5, s60, v5                                  // 00000000B598: 680A0A3C
	s_barrier                                                  // 00000000B59C: BF8A0000
	s_cmp_ge_i32 1, s73                                        // 00000000B5A0: BF034981
	s_cbranch_scc1 label_219C                                  // 00000000B5A4: BF85039A
	v_accvgpr_read_b32 v30, a192                               // 00000000B5A8: D3D8401E 180001C0
	v_accvgpr_read_b32 v31, a193                               // 00000000B5B0: D3D8401F 180001C1
	v_mul_f32_e32 v30, s47, v30                                // 00000000B5B8: 0A3C3C2F
	v_mul_f32_e32 v31, s47, v31                                // 00000000B5BC: 0A3E3E2F
	v_cmp_u_f32_e64 s[74:75], v30, v30                         // 00000000B5C0: D048004A 00023D1E
	v_bfe_u32 v248, v30, 16, 1                                 // 00000000B5C8: D1C800F8 0205211E
	v_add3_u32 v248, v30, v248, v251                           // 00000000B5D0: D1FF00F8 07EFF11E
	v_cndmask_b32_e64 v28, v248, v250, s[74:75]                // 00000000B5D8: D100001C 012BF5F8
	v_lshrrev_b32_e32 v28, 16, v28                             // 00000000B5E0: 20383890
	v_cmp_u_f32_e64 s[74:75], v31, v31                         // 00000000B5E4: D048004A 00023F1F
	v_bfe_u32 v248, v31, 16, 1                                 // 00000000B5EC: D1C800F8 0205211F
	v_add3_u32 v248, v31, v248, v251                           // 00000000B5F4: D1FF00F8 07EFF11F
	v_cndmask_b32_e64 v29, v248, v250, s[74:75]                // 00000000B5FC: D100001D 012BF5F8
	v_and_or_b32 v64, v29, v249, v28                           // 00000000B604: D2010040 0473F31D
	v_accvgpr_read_b32 v30, a194                               // 00000000B60C: D3D8401E 180001C2
	v_accvgpr_read_b32 v31, a195                               // 00000000B614: D3D8401F 180001C3
	v_mul_f32_e32 v30, s47, v30                                // 00000000B61C: 0A3C3C2F
	v_mul_f32_e32 v31, s47, v31                                // 00000000B620: 0A3E3E2F
	v_cmp_u_f32_e64 s[74:75], v30, v30                         // 00000000B624: D048004A 00023D1E
	v_bfe_u32 v248, v30, 16, 1                                 // 00000000B62C: D1C800F8 0205211E
	v_add3_u32 v248, v30, v248, v251                           // 00000000B634: D1FF00F8 07EFF11E
	v_cndmask_b32_e64 v28, v248, v250, s[74:75]                // 00000000B63C: D100001C 012BF5F8
	v_lshrrev_b32_e32 v28, 16, v28                             // 00000000B644: 20383890
	v_cmp_u_f32_e64 s[74:75], v31, v31                         // 00000000B648: D048004A 00023F1F
	v_bfe_u32 v248, v31, 16, 1                                 // 00000000B650: D1C800F8 0205211F
	v_add3_u32 v248, v31, v248, v251                           // 00000000B658: D1FF00F8 07EFF11F
	v_cndmask_b32_e64 v29, v248, v250, s[74:75]                // 00000000B660: D100001D 012BF5F8
	v_and_or_b32 v65, v29, v249, v28                           // 00000000B668: D2010041 0473F31D
	v_accvgpr_read_b32 v30, a196                               // 00000000B670: D3D8401E 180001C4
	v_accvgpr_read_b32 v31, a197                               // 00000000B678: D3D8401F 180001C5
	v_mul_f32_e32 v30, s47, v30                                // 00000000B680: 0A3C3C2F
	v_mul_f32_e32 v31, s47, v31                                // 00000000B684: 0A3E3E2F
	v_cmp_u_f32_e64 s[74:75], v30, v30                         // 00000000B688: D048004A 00023D1E
	v_bfe_u32 v248, v30, 16, 1                                 // 00000000B690: D1C800F8 0205211E
	v_add3_u32 v248, v30, v248, v251                           // 00000000B698: D1FF00F8 07EFF11E
	v_cndmask_b32_e64 v28, v248, v250, s[74:75]                // 00000000B6A0: D100001C 012BF5F8
	v_lshrrev_b32_e32 v28, 16, v28                             // 00000000B6A8: 20383890
	v_cmp_u_f32_e64 s[74:75], v31, v31                         // 00000000B6AC: D048004A 00023F1F
	v_bfe_u32 v248, v31, 16, 1                                 // 00000000B6B4: D1C800F8 0205211F
	v_add3_u32 v248, v31, v248, v251                           // 00000000B6BC: D1FF00F8 07EFF11F
	v_cndmask_b32_e64 v29, v248, v250, s[74:75]                // 00000000B6C4: D100001D 012BF5F8
	v_and_or_b32 v66, v29, v249, v28                           // 00000000B6CC: D2010042 0473F31D
	v_accvgpr_read_b32 v30, a198                               // 00000000B6D4: D3D8401E 180001C6
	v_accvgpr_read_b32 v31, a199                               // 00000000B6DC: D3D8401F 180001C7
	v_mul_f32_e32 v30, s47, v30                                // 00000000B6E4: 0A3C3C2F
	v_mul_f32_e32 v31, s47, v31                                // 00000000B6E8: 0A3E3E2F
	v_cmp_u_f32_e64 s[74:75], v30, v30                         // 00000000B6EC: D048004A 00023D1E
	v_bfe_u32 v248, v30, 16, 1                                 // 00000000B6F4: D1C800F8 0205211E
	v_add3_u32 v248, v30, v248, v251                           // 00000000B6FC: D1FF00F8 07EFF11E
	v_cndmask_b32_e64 v28, v248, v250, s[74:75]                // 00000000B704: D100001C 012BF5F8
	v_lshrrev_b32_e32 v28, 16, v28                             // 00000000B70C: 20383890
	v_cmp_u_f32_e64 s[74:75], v31, v31                         // 00000000B710: D048004A 00023F1F
	v_bfe_u32 v248, v31, 16, 1                                 // 00000000B718: D1C800F8 0205211F
	v_add3_u32 v248, v31, v248, v251                           // 00000000B720: D1FF00F8 07EFF11F
	v_cndmask_b32_e64 v29, v248, v250, s[74:75]                // 00000000B728: D100001D 012BF5F8
	v_and_or_b32 v67, v29, v249, v28                           // 00000000B730: D2010043 0473F31D
	v_accvgpr_read_b32 v30, a200                               // 00000000B738: D3D8401E 180001C8
	v_accvgpr_read_b32 v31, a201                               // 00000000B740: D3D8401F 180001C9
	v_mul_f32_e32 v30, s47, v30                                // 00000000B748: 0A3C3C2F
	v_mul_f32_e32 v31, s47, v31                                // 00000000B74C: 0A3E3E2F
	v_cmp_u_f32_e64 s[74:75], v30, v30                         // 00000000B750: D048004A 00023D1E
	v_bfe_u32 v248, v30, 16, 1                                 // 00000000B758: D1C800F8 0205211E
	v_add3_u32 v248, v30, v248, v251                           // 00000000B760: D1FF00F8 07EFF11E
	v_cndmask_b32_e64 v28, v248, v250, s[74:75]                // 00000000B768: D100001C 012BF5F8
	v_lshrrev_b32_e32 v28, 16, v28                             // 00000000B770: 20383890
	v_cmp_u_f32_e64 s[74:75], v31, v31                         // 00000000B774: D048004A 00023F1F
	v_bfe_u32 v248, v31, 16, 1                                 // 00000000B77C: D1C800F8 0205211F
	v_add3_u32 v248, v31, v248, v251                           // 00000000B784: D1FF00F8 07EFF11F
	v_cndmask_b32_e64 v29, v248, v250, s[74:75]                // 00000000B78C: D100001D 012BF5F8
	v_and_or_b32 v68, v29, v249, v28                           // 00000000B794: D2010044 0473F31D
	v_accvgpr_read_b32 v30, a202                               // 00000000B79C: D3D8401E 180001CA
	v_accvgpr_read_b32 v31, a203                               // 00000000B7A4: D3D8401F 180001CB
	v_mul_f32_e32 v30, s47, v30                                // 00000000B7AC: 0A3C3C2F
	v_mul_f32_e32 v31, s47, v31                                // 00000000B7B0: 0A3E3E2F
	v_cmp_u_f32_e64 s[74:75], v30, v30                         // 00000000B7B4: D048004A 00023D1E
	v_bfe_u32 v248, v30, 16, 1                                 // 00000000B7BC: D1C800F8 0205211E
	v_add3_u32 v248, v30, v248, v251                           // 00000000B7C4: D1FF00F8 07EFF11E
	v_cndmask_b32_e64 v28, v248, v250, s[74:75]                // 00000000B7CC: D100001C 012BF5F8
	v_lshrrev_b32_e32 v28, 16, v28                             // 00000000B7D4: 20383890
	v_cmp_u_f32_e64 s[74:75], v31, v31                         // 00000000B7D8: D048004A 00023F1F
	v_bfe_u32 v248, v31, 16, 1                                 // 00000000B7E0: D1C800F8 0205211F
	v_add3_u32 v248, v31, v248, v251                           // 00000000B7E8: D1FF00F8 07EFF11F
	v_cndmask_b32_e64 v29, v248, v250, s[74:75]                // 00000000B7F0: D100001D 012BF5F8
	v_and_or_b32 v69, v29, v249, v28                           // 00000000B7F8: D2010045 0473F31D
	v_accvgpr_read_b32 v30, a204                               // 00000000B800: D3D8401E 180001CC
	v_accvgpr_read_b32 v31, a205                               // 00000000B808: D3D8401F 180001CD
	v_mul_f32_e32 v30, s47, v30                                // 00000000B810: 0A3C3C2F
	v_mul_f32_e32 v31, s47, v31                                // 00000000B814: 0A3E3E2F
	v_cmp_u_f32_e64 s[74:75], v30, v30                         // 00000000B818: D048004A 00023D1E
	v_bfe_u32 v248, v30, 16, 1                                 // 00000000B820: D1C800F8 0205211E
	v_add3_u32 v248, v30, v248, v251                           // 00000000B828: D1FF00F8 07EFF11E
	v_cndmask_b32_e64 v28, v248, v250, s[74:75]                // 00000000B830: D100001C 012BF5F8
	v_lshrrev_b32_e32 v28, 16, v28                             // 00000000B838: 20383890
	v_cmp_u_f32_e64 s[74:75], v31, v31                         // 00000000B83C: D048004A 00023F1F
	v_bfe_u32 v248, v31, 16, 1                                 // 00000000B844: D1C800F8 0205211F
	v_add3_u32 v248, v31, v248, v251                           // 00000000B84C: D1FF00F8 07EFF11F
	v_cndmask_b32_e64 v29, v248, v250, s[74:75]                // 00000000B854: D100001D 012BF5F8
	v_and_or_b32 v70, v29, v249, v28                           // 00000000B85C: D2010046 0473F31D
	v_accvgpr_read_b32 v30, a206                               // 00000000B864: D3D8401E 180001CE
	v_accvgpr_read_b32 v31, a207                               // 00000000B86C: D3D8401F 180001CF
	v_mul_f32_e32 v30, s47, v30                                // 00000000B874: 0A3C3C2F
	v_mul_f32_e32 v31, s47, v31                                // 00000000B878: 0A3E3E2F
	v_cmp_u_f32_e64 s[74:75], v30, v30                         // 00000000B87C: D048004A 00023D1E
	v_bfe_u32 v248, v30, 16, 1                                 // 00000000B884: D1C800F8 0205211E
	v_add3_u32 v248, v30, v248, v251                           // 00000000B88C: D1FF00F8 07EFF11E
	v_cndmask_b32_e64 v28, v248, v250, s[74:75]                // 00000000B894: D100001C 012BF5F8
	v_lshrrev_b32_e32 v28, 16, v28                             // 00000000B89C: 20383890
	v_cmp_u_f32_e64 s[74:75], v31, v31                         // 00000000B8A0: D048004A 00023F1F
	v_bfe_u32 v248, v31, 16, 1                                 // 00000000B8A8: D1C800F8 0205211F
	v_add3_u32 v248, v31, v248, v251                           // 00000000B8B0: D1FF00F8 07EFF11F
	v_cndmask_b32_e64 v29, v248, v250, s[74:75]                // 00000000B8B8: D100001D 012BF5F8
	v_and_or_b32 v71, v29, v249, v28                           // 00000000B8C0: D2010047 0473F31D
	v_accvgpr_read_b32 v30, a208                               // 00000000B8C8: D3D8401E 180001D0
	v_accvgpr_read_b32 v31, a209                               // 00000000B8D0: D3D8401F 180001D1
	v_mul_f32_e32 v30, s47, v30                                // 00000000B8D8: 0A3C3C2F
	v_mul_f32_e32 v31, s47, v31                                // 00000000B8DC: 0A3E3E2F
	v_cmp_u_f32_e64 s[74:75], v30, v30                         // 00000000B8E0: D048004A 00023D1E
	v_bfe_u32 v248, v30, 16, 1                                 // 00000000B8E8: D1C800F8 0205211E
	v_add3_u32 v248, v30, v248, v251                           // 00000000B8F0: D1FF00F8 07EFF11E
	v_cndmask_b32_e64 v28, v248, v250, s[74:75]                // 00000000B8F8: D100001C 012BF5F8
	v_lshrrev_b32_e32 v28, 16, v28                             // 00000000B900: 20383890
	v_cmp_u_f32_e64 s[74:75], v31, v31                         // 00000000B904: D048004A 00023F1F
	v_bfe_u32 v248, v31, 16, 1                                 // 00000000B90C: D1C800F8 0205211F
	v_add3_u32 v248, v31, v248, v251                           // 00000000B914: D1FF00F8 07EFF11F
	v_cndmask_b32_e64 v29, v248, v250, s[74:75]                // 00000000B91C: D100001D 012BF5F8
	v_and_or_b32 v72, v29, v249, v28                           // 00000000B924: D2010048 0473F31D
	v_accvgpr_read_b32 v30, a210                               // 00000000B92C: D3D8401E 180001D2
	v_accvgpr_read_b32 v31, a211                               // 00000000B934: D3D8401F 180001D3
	v_mul_f32_e32 v30, s47, v30                                // 00000000B93C: 0A3C3C2F
	v_mul_f32_e32 v31, s47, v31                                // 00000000B940: 0A3E3E2F
	v_cmp_u_f32_e64 s[74:75], v30, v30                         // 00000000B944: D048004A 00023D1E
	v_bfe_u32 v248, v30, 16, 1                                 // 00000000B94C: D1C800F8 0205211E
	v_add3_u32 v248, v30, v248, v251                           // 00000000B954: D1FF00F8 07EFF11E
	v_cndmask_b32_e64 v28, v248, v250, s[74:75]                // 00000000B95C: D100001C 012BF5F8
	v_lshrrev_b32_e32 v28, 16, v28                             // 00000000B964: 20383890
	v_cmp_u_f32_e64 s[74:75], v31, v31                         // 00000000B968: D048004A 00023F1F
	v_bfe_u32 v248, v31, 16, 1                                 // 00000000B970: D1C800F8 0205211F
	v_add3_u32 v248, v31, v248, v251                           // 00000000B978: D1FF00F8 07EFF11F
	v_cndmask_b32_e64 v29, v248, v250, s[74:75]                // 00000000B980: D100001D 012BF5F8
	v_and_or_b32 v73, v29, v249, v28                           // 00000000B988: D2010049 0473F31D
	v_accvgpr_read_b32 v30, a212                               // 00000000B990: D3D8401E 180001D4
	v_accvgpr_read_b32 v31, a213                               // 00000000B998: D3D8401F 180001D5
	v_mul_f32_e32 v30, s47, v30                                // 00000000B9A0: 0A3C3C2F
	v_mul_f32_e32 v31, s47, v31                                // 00000000B9A4: 0A3E3E2F
	v_cmp_u_f32_e64 s[74:75], v30, v30                         // 00000000B9A8: D048004A 00023D1E
	v_bfe_u32 v248, v30, 16, 1                                 // 00000000B9B0: D1C800F8 0205211E
	v_add3_u32 v248, v30, v248, v251                           // 00000000B9B8: D1FF00F8 07EFF11E
	v_cndmask_b32_e64 v28, v248, v250, s[74:75]                // 00000000B9C0: D100001C 012BF5F8
	v_lshrrev_b32_e32 v28, 16, v28                             // 00000000B9C8: 20383890
	v_cmp_u_f32_e64 s[74:75], v31, v31                         // 00000000B9CC: D048004A 00023F1F
	v_bfe_u32 v248, v31, 16, 1                                 // 00000000B9D4: D1C800F8 0205211F
	v_add3_u32 v248, v31, v248, v251                           // 00000000B9DC: D1FF00F8 07EFF11F
	v_cndmask_b32_e64 v29, v248, v250, s[74:75]                // 00000000B9E4: D100001D 012BF5F8
	v_and_or_b32 v74, v29, v249, v28                           // 00000000B9EC: D201004A 0473F31D
	v_accvgpr_read_b32 v30, a214                               // 00000000B9F4: D3D8401E 180001D6
	v_accvgpr_read_b32 v31, a215                               // 00000000B9FC: D3D8401F 180001D7
	v_mul_f32_e32 v30, s47, v30                                // 00000000BA04: 0A3C3C2F
	v_mul_f32_e32 v31, s47, v31                                // 00000000BA08: 0A3E3E2F
	v_cmp_u_f32_e64 s[74:75], v30, v30                         // 00000000BA0C: D048004A 00023D1E
	v_bfe_u32 v248, v30, 16, 1                                 // 00000000BA14: D1C800F8 0205211E
	v_add3_u32 v248, v30, v248, v251                           // 00000000BA1C: D1FF00F8 07EFF11E
	v_cndmask_b32_e64 v28, v248, v250, s[74:75]                // 00000000BA24: D100001C 012BF5F8
	v_lshrrev_b32_e32 v28, 16, v28                             // 00000000BA2C: 20383890
	v_cmp_u_f32_e64 s[74:75], v31, v31                         // 00000000BA30: D048004A 00023F1F
	v_bfe_u32 v248, v31, 16, 1                                 // 00000000BA38: D1C800F8 0205211F
	v_add3_u32 v248, v31, v248, v251                           // 00000000BA40: D1FF00F8 07EFF11F
	v_cndmask_b32_e64 v29, v248, v250, s[74:75]                // 00000000BA48: D100001D 012BF5F8
	v_and_or_b32 v75, v29, v249, v28                           // 00000000BA50: D201004B 0473F31D
	v_accvgpr_read_b32 v30, a216                               // 00000000BA58: D3D8401E 180001D8
	v_accvgpr_read_b32 v31, a217                               // 00000000BA60: D3D8401F 180001D9
	v_mul_f32_e32 v30, s47, v30                                // 00000000BA68: 0A3C3C2F
	v_mul_f32_e32 v31, s47, v31                                // 00000000BA6C: 0A3E3E2F
	v_cmp_u_f32_e64 s[74:75], v30, v30                         // 00000000BA70: D048004A 00023D1E
	v_bfe_u32 v248, v30, 16, 1                                 // 00000000BA78: D1C800F8 0205211E
	v_add3_u32 v248, v30, v248, v251                           // 00000000BA80: D1FF00F8 07EFF11E
	v_cndmask_b32_e64 v28, v248, v250, s[74:75]                // 00000000BA88: D100001C 012BF5F8
	v_lshrrev_b32_e32 v28, 16, v28                             // 00000000BA90: 20383890
	v_cmp_u_f32_e64 s[74:75], v31, v31                         // 00000000BA94: D048004A 00023F1F
	v_bfe_u32 v248, v31, 16, 1                                 // 00000000BA9C: D1C800F8 0205211F
	v_add3_u32 v248, v31, v248, v251                           // 00000000BAA4: D1FF00F8 07EFF11F
	v_cndmask_b32_e64 v29, v248, v250, s[74:75]                // 00000000BAAC: D100001D 012BF5F8
	v_and_or_b32 v76, v29, v249, v28                           // 00000000BAB4: D201004C 0473F31D
	v_accvgpr_read_b32 v30, a218                               // 00000000BABC: D3D8401E 180001DA
	v_accvgpr_read_b32 v31, a219                               // 00000000BAC4: D3D8401F 180001DB
	v_mul_f32_e32 v30, s47, v30                                // 00000000BACC: 0A3C3C2F
	v_mul_f32_e32 v31, s47, v31                                // 00000000BAD0: 0A3E3E2F
	v_cmp_u_f32_e64 s[74:75], v30, v30                         // 00000000BAD4: D048004A 00023D1E
	v_bfe_u32 v248, v30, 16, 1                                 // 00000000BADC: D1C800F8 0205211E
	v_add3_u32 v248, v30, v248, v251                           // 00000000BAE4: D1FF00F8 07EFF11E
	v_cndmask_b32_e64 v28, v248, v250, s[74:75]                // 00000000BAEC: D100001C 012BF5F8
	v_lshrrev_b32_e32 v28, 16, v28                             // 00000000BAF4: 20383890
	v_cmp_u_f32_e64 s[74:75], v31, v31                         // 00000000BAF8: D048004A 00023F1F
	v_bfe_u32 v248, v31, 16, 1                                 // 00000000BB00: D1C800F8 0205211F
	v_add3_u32 v248, v31, v248, v251                           // 00000000BB08: D1FF00F8 07EFF11F
	v_cndmask_b32_e64 v29, v248, v250, s[74:75]                // 00000000BB10: D100001D 012BF5F8
	v_and_or_b32 v77, v29, v249, v28                           // 00000000BB18: D201004D 0473F31D
	v_accvgpr_read_b32 v30, a220                               // 00000000BB20: D3D8401E 180001DC
	v_accvgpr_read_b32 v31, a221                               // 00000000BB28: D3D8401F 180001DD
	v_mul_f32_e32 v30, s47, v30                                // 00000000BB30: 0A3C3C2F
	v_mul_f32_e32 v31, s47, v31                                // 00000000BB34: 0A3E3E2F
	v_cmp_u_f32_e64 s[74:75], v30, v30                         // 00000000BB38: D048004A 00023D1E
	v_bfe_u32 v248, v30, 16, 1                                 // 00000000BB40: D1C800F8 0205211E
	v_add3_u32 v248, v30, v248, v251                           // 00000000BB48: D1FF00F8 07EFF11E
	v_cndmask_b32_e64 v28, v248, v250, s[74:75]                // 00000000BB50: D100001C 012BF5F8
	v_lshrrev_b32_e32 v28, 16, v28                             // 00000000BB58: 20383890
	v_cmp_u_f32_e64 s[74:75], v31, v31                         // 00000000BB5C: D048004A 00023F1F
	v_bfe_u32 v248, v31, 16, 1                                 // 00000000BB64: D1C800F8 0205211F
	v_add3_u32 v248, v31, v248, v251                           // 00000000BB6C: D1FF00F8 07EFF11F
	v_cndmask_b32_e64 v29, v248, v250, s[74:75]                // 00000000BB74: D100001D 012BF5F8
	v_and_or_b32 v78, v29, v249, v28                           // 00000000BB7C: D201004E 0473F31D
	v_accvgpr_read_b32 v30, a222                               // 00000000BB84: D3D8401E 180001DE
	v_accvgpr_read_b32 v31, a223                               // 00000000BB8C: D3D8401F 180001DF
	v_mul_f32_e32 v30, s47, v30                                // 00000000BB94: 0A3C3C2F
	v_mul_f32_e32 v31, s47, v31                                // 00000000BB98: 0A3E3E2F
	v_cmp_u_f32_e64 s[74:75], v30, v30                         // 00000000BB9C: D048004A 00023D1E
	v_bfe_u32 v248, v30, 16, 1                                 // 00000000BBA4: D1C800F8 0205211E
	v_add3_u32 v248, v30, v248, v251                           // 00000000BBAC: D1FF00F8 07EFF11E
	v_cndmask_b32_e64 v28, v248, v250, s[74:75]                // 00000000BBB4: D100001C 012BF5F8
	v_lshrrev_b32_e32 v28, 16, v28                             // 00000000BBBC: 20383890
	v_cmp_u_f32_e64 s[74:75], v31, v31                         // 00000000BBC0: D048004A 00023F1F
	v_bfe_u32 v248, v31, 16, 1                                 // 00000000BBC8: D1C800F8 0205211F
	v_add3_u32 v248, v31, v248, v251                           // 00000000BBD0: D1FF00F8 07EFF11F
	v_cndmask_b32_e64 v29, v248, v250, s[74:75]                // 00000000BBD8: D100001D 012BF5F8
	v_and_or_b32 v79, v29, v249, v28                           // 00000000BBE0: D201004F 0473F31D
	ds_write_b64 v25, v[64:65] offset:16896                    // 00000000BBE8: D89A4200 00004019
	ds_write_b64 v25, v[66:67] offset:17424                    // 00000000BBF0: D89A4410 00004219
	ds_write_b64 v25, v[68:69] offset:17952                    // 00000000BBF8: D89A4620 00004419
	ds_write_b64 v25, v[70:71] offset:18480                    // 00000000BC00: D89A4830 00004619
	ds_write_b64 v25, v[72:73] offset:19008                    // 00000000BC08: D89A4A40 00004819
	ds_write_b64 v25, v[74:75] offset:19536                    // 00000000BC10: D89A4C50 00004A19
	ds_write_b64 v25, v[76:77] offset:20064                    // 00000000BC18: D89A4E60 00004C19
	ds_write_b64 v25, v[78:79] offset:20592                    // 00000000BC20: D89A5070 00004E19
	s_waitcnt lgkmcnt(0)                                       // 00000000BC28: BF8CC07F
	s_barrier                                                  // 00000000BC2C: BF8A0000
	ds_read_b64 v[64:65], v24 offset:16896                     // 00000000BC30: D8EC4200 40000018
	ds_read_b64 v[66:67], v24 offset:17024                     // 00000000BC38: D8EC4280 42000018
	ds_read_b64 v[68:69], v24 offset:16928                     // 00000000BC40: D8EC4220 44000018
	ds_read_b64 v[70:71], v24 offset:17056                     // 00000000BC48: D8EC42A0 46000018
	ds_read_b64 v[72:73], v24 offset:16960                     // 00000000BC50: D8EC4240 48000018
	ds_read_b64 v[74:75], v24 offset:17088                     // 00000000BC58: D8EC42C0 4A000018
	ds_read_b64 v[76:77], v24 offset:16992                     // 00000000BC60: D8EC4260 4C000018
	ds_read_b64 v[78:79], v24 offset:17120                     // 00000000BC68: D8EC42E0 4E000018
	s_waitcnt lgkmcnt(0)                                       // 00000000BC70: BF8CC07F
	s_mov_b32 s70, s52                                         // 00000000BC74: BEC60034
	s_mov_b64 exec, s[90:91]                                   // 00000000BC78: BEFE015A
	buffer_store_dwordx4 v[64:67], v5, s[36:39], 0 idxen       // 00000000BC7C: E07C2000 80094005
	s_mov_b64 exec, s[86:87]                                   // 00000000BC84: BEFE0156
	v_add_u32_e32 v5, s70, v5                                  // 00000000BC88: 680A0A46
	s_mov_b64 exec, s[90:91]                                   // 00000000BC8C: BEFE015A
	buffer_store_dwordx4 v[68:71], v5, s[36:39], 0 idxen       // 00000000BC90: E07C2000 80094405
	s_mov_b64 exec, s[86:87]                                   // 00000000BC98: BEFE0156
	v_add_u32_e32 v5, s70, v5                                  // 00000000BC9C: 680A0A46
	s_mov_b64 exec, s[90:91]                                   // 00000000BCA0: BEFE015A
	buffer_store_dwordx4 v[72:75], v5, s[36:39], 0 idxen       // 00000000BCA4: E07C2000 80094805
	s_mov_b64 exec, s[86:87]                                   // 00000000BCAC: BEFE0156
	v_add_u32_e32 v5, s70, v5                                  // 00000000BCB0: 680A0A46
	s_mov_b64 exec, s[90:91]                                   // 00000000BCB4: BEFE015A
	buffer_store_dwordx4 v[76:79], v5, s[36:39], 0 idxen       // 00000000BCB8: E07C2000 80094C05
	s_mov_b64 exec, s[86:87]                                   // 00000000BCC0: BEFE0156
	v_add_u32_e32 v5, s70, v5                                  // 00000000BCC4: 680A0A46
	s_mul_i32 s60, 12, s70                                     // 00000000BCC8: 923C468C
	v_add_u32_e32 v5, s60, v5                                  // 00000000BCCC: 680A0A3C
	s_barrier                                                  // 00000000BCD0: BF8A0000
	s_cmp_ge_i32 2, s73                                        // 00000000BCD4: BF034982
	s_cbranch_scc1 label_219C                                  // 00000000BCD8: BF8501CD
	v_accvgpr_read_b32 v30, a224                               // 00000000BCDC: D3D8401E 180001E0
	v_accvgpr_read_b32 v31, a225                               // 00000000BCE4: D3D8401F 180001E1
	v_mul_f32_e32 v30, s47, v30                                // 00000000BCEC: 0A3C3C2F
	v_mul_f32_e32 v31, s47, v31                                // 00000000BCF0: 0A3E3E2F
	v_cmp_u_f32_e64 s[74:75], v30, v30                         // 00000000BCF4: D048004A 00023D1E
	v_bfe_u32 v248, v30, 16, 1                                 // 00000000BCFC: D1C800F8 0205211E
	v_add3_u32 v248, v30, v248, v251                           // 00000000BD04: D1FF00F8 07EFF11E
	v_cndmask_b32_e64 v28, v248, v250, s[74:75]                // 00000000BD0C: D100001C 012BF5F8
	v_lshrrev_b32_e32 v28, 16, v28                             // 00000000BD14: 20383890
	v_cmp_u_f32_e64 s[74:75], v31, v31                         // 00000000BD18: D048004A 00023F1F
	v_bfe_u32 v248, v31, 16, 1                                 // 00000000BD20: D1C800F8 0205211F
	v_add3_u32 v248, v31, v248, v251                           // 00000000BD28: D1FF00F8 07EFF11F
	v_cndmask_b32_e64 v29, v248, v250, s[74:75]                // 00000000BD30: D100001D 012BF5F8
	v_and_or_b32 v80, v29, v249, v28                           // 00000000BD38: D2010050 0473F31D
	v_accvgpr_read_b32 v30, a226                               // 00000000BD40: D3D8401E 180001E2
	v_accvgpr_read_b32 v31, a227                               // 00000000BD48: D3D8401F 180001E3
	v_mul_f32_e32 v30, s47, v30                                // 00000000BD50: 0A3C3C2F
	v_mul_f32_e32 v31, s47, v31                                // 00000000BD54: 0A3E3E2F
	v_cmp_u_f32_e64 s[74:75], v30, v30                         // 00000000BD58: D048004A 00023D1E
	v_bfe_u32 v248, v30, 16, 1                                 // 00000000BD60: D1C800F8 0205211E
	v_add3_u32 v248, v30, v248, v251                           // 00000000BD68: D1FF00F8 07EFF11E
	v_cndmask_b32_e64 v28, v248, v250, s[74:75]                // 00000000BD70: D100001C 012BF5F8
	v_lshrrev_b32_e32 v28, 16, v28                             // 00000000BD78: 20383890
	v_cmp_u_f32_e64 s[74:75], v31, v31                         // 00000000BD7C: D048004A 00023F1F
	v_bfe_u32 v248, v31, 16, 1                                 // 00000000BD84: D1C800F8 0205211F
	v_add3_u32 v248, v31, v248, v251                           // 00000000BD8C: D1FF00F8 07EFF11F
	v_cndmask_b32_e64 v29, v248, v250, s[74:75]                // 00000000BD94: D100001D 012BF5F8
	v_and_or_b32 v81, v29, v249, v28                           // 00000000BD9C: D2010051 0473F31D
	v_accvgpr_read_b32 v30, a228                               // 00000000BDA4: D3D8401E 180001E4
	v_accvgpr_read_b32 v31, a229                               // 00000000BDAC: D3D8401F 180001E5
	v_mul_f32_e32 v30, s47, v30                                // 00000000BDB4: 0A3C3C2F
	v_mul_f32_e32 v31, s47, v31                                // 00000000BDB8: 0A3E3E2F
	v_cmp_u_f32_e64 s[74:75], v30, v30                         // 00000000BDBC: D048004A 00023D1E
	v_bfe_u32 v248, v30, 16, 1                                 // 00000000BDC4: D1C800F8 0205211E
	v_add3_u32 v248, v30, v248, v251                           // 00000000BDCC: D1FF00F8 07EFF11E
	v_cndmask_b32_e64 v28, v248, v250, s[74:75]                // 00000000BDD4: D100001C 012BF5F8
	v_lshrrev_b32_e32 v28, 16, v28                             // 00000000BDDC: 20383890
	v_cmp_u_f32_e64 s[74:75], v31, v31                         // 00000000BDE0: D048004A 00023F1F
	v_bfe_u32 v248, v31, 16, 1                                 // 00000000BDE8: D1C800F8 0205211F
	v_add3_u32 v248, v31, v248, v251                           // 00000000BDF0: D1FF00F8 07EFF11F
	v_cndmask_b32_e64 v29, v248, v250, s[74:75]                // 00000000BDF8: D100001D 012BF5F8
	v_and_or_b32 v82, v29, v249, v28                           // 00000000BE00: D2010052 0473F31D
	v_accvgpr_read_b32 v30, a230                               // 00000000BE08: D3D8401E 180001E6
	v_accvgpr_read_b32 v31, a231                               // 00000000BE10: D3D8401F 180001E7
	v_mul_f32_e32 v30, s47, v30                                // 00000000BE18: 0A3C3C2F
	v_mul_f32_e32 v31, s47, v31                                // 00000000BE1C: 0A3E3E2F
	v_cmp_u_f32_e64 s[74:75], v30, v30                         // 00000000BE20: D048004A 00023D1E
	v_bfe_u32 v248, v30, 16, 1                                 // 00000000BE28: D1C800F8 0205211E
	v_add3_u32 v248, v30, v248, v251                           // 00000000BE30: D1FF00F8 07EFF11E
	v_cndmask_b32_e64 v28, v248, v250, s[74:75]                // 00000000BE38: D100001C 012BF5F8
	v_lshrrev_b32_e32 v28, 16, v28                             // 00000000BE40: 20383890
	v_cmp_u_f32_e64 s[74:75], v31, v31                         // 00000000BE44: D048004A 00023F1F
	v_bfe_u32 v248, v31, 16, 1                                 // 00000000BE4C: D1C800F8 0205211F
	v_add3_u32 v248, v31, v248, v251                           // 00000000BE54: D1FF00F8 07EFF11F
	v_cndmask_b32_e64 v29, v248, v250, s[74:75]                // 00000000BE5C: D100001D 012BF5F8
	v_and_or_b32 v83, v29, v249, v28                           // 00000000BE64: D2010053 0473F31D
	v_accvgpr_read_b32 v30, a232                               // 00000000BE6C: D3D8401E 180001E8
	v_accvgpr_read_b32 v31, a233                               // 00000000BE74: D3D8401F 180001E9
	v_mul_f32_e32 v30, s47, v30                                // 00000000BE7C: 0A3C3C2F
	v_mul_f32_e32 v31, s47, v31                                // 00000000BE80: 0A3E3E2F
	v_cmp_u_f32_e64 s[74:75], v30, v30                         // 00000000BE84: D048004A 00023D1E
	v_bfe_u32 v248, v30, 16, 1                                 // 00000000BE8C: D1C800F8 0205211E
	v_add3_u32 v248, v30, v248, v251                           // 00000000BE94: D1FF00F8 07EFF11E
	v_cndmask_b32_e64 v28, v248, v250, s[74:75]                // 00000000BE9C: D100001C 012BF5F8
	v_lshrrev_b32_e32 v28, 16, v28                             // 00000000BEA4: 20383890
	v_cmp_u_f32_e64 s[74:75], v31, v31                         // 00000000BEA8: D048004A 00023F1F
	v_bfe_u32 v248, v31, 16, 1                                 // 00000000BEB0: D1C800F8 0205211F
	v_add3_u32 v248, v31, v248, v251                           // 00000000BEB8: D1FF00F8 07EFF11F
	v_cndmask_b32_e64 v29, v248, v250, s[74:75]                // 00000000BEC0: D100001D 012BF5F8
	v_and_or_b32 v84, v29, v249, v28                           // 00000000BEC8: D2010054 0473F31D
	v_accvgpr_read_b32 v30, a234                               // 00000000BED0: D3D8401E 180001EA
	v_accvgpr_read_b32 v31, a235                               // 00000000BED8: D3D8401F 180001EB
	v_mul_f32_e32 v30, s47, v30                                // 00000000BEE0: 0A3C3C2F
	v_mul_f32_e32 v31, s47, v31                                // 00000000BEE4: 0A3E3E2F
	v_cmp_u_f32_e64 s[74:75], v30, v30                         // 00000000BEE8: D048004A 00023D1E
	v_bfe_u32 v248, v30, 16, 1                                 // 00000000BEF0: D1C800F8 0205211E
	v_add3_u32 v248, v30, v248, v251                           // 00000000BEF8: D1FF00F8 07EFF11E
	v_cndmask_b32_e64 v28, v248, v250, s[74:75]                // 00000000BF00: D100001C 012BF5F8
	v_lshrrev_b32_e32 v28, 16, v28                             // 00000000BF08: 20383890
	v_cmp_u_f32_e64 s[74:75], v31, v31                         // 00000000BF0C: D048004A 00023F1F
	v_bfe_u32 v248, v31, 16, 1                                 // 00000000BF14: D1C800F8 0205211F
	v_add3_u32 v248, v31, v248, v251                           // 00000000BF1C: D1FF00F8 07EFF11F
	v_cndmask_b32_e64 v29, v248, v250, s[74:75]                // 00000000BF24: D100001D 012BF5F8
	v_and_or_b32 v85, v29, v249, v28                           // 00000000BF2C: D2010055 0473F31D
	v_accvgpr_read_b32 v30, a236                               // 00000000BF34: D3D8401E 180001EC
	v_accvgpr_read_b32 v31, a237                               // 00000000BF3C: D3D8401F 180001ED
	v_mul_f32_e32 v30, s47, v30                                // 00000000BF44: 0A3C3C2F
	v_mul_f32_e32 v31, s47, v31                                // 00000000BF48: 0A3E3E2F
	v_cmp_u_f32_e64 s[74:75], v30, v30                         // 00000000BF4C: D048004A 00023D1E
	v_bfe_u32 v248, v30, 16, 1                                 // 00000000BF54: D1C800F8 0205211E
	v_add3_u32 v248, v30, v248, v251                           // 00000000BF5C: D1FF00F8 07EFF11E
	v_cndmask_b32_e64 v28, v248, v250, s[74:75]                // 00000000BF64: D100001C 012BF5F8
	v_lshrrev_b32_e32 v28, 16, v28                             // 00000000BF6C: 20383890
	v_cmp_u_f32_e64 s[74:75], v31, v31                         // 00000000BF70: D048004A 00023F1F
	v_bfe_u32 v248, v31, 16, 1                                 // 00000000BF78: D1C800F8 0205211F
	v_add3_u32 v248, v31, v248, v251                           // 00000000BF80: D1FF00F8 07EFF11F
	v_cndmask_b32_e64 v29, v248, v250, s[74:75]                // 00000000BF88: D100001D 012BF5F8
	v_and_or_b32 v86, v29, v249, v28                           // 00000000BF90: D2010056 0473F31D
	v_accvgpr_read_b32 v30, a238                               // 00000000BF98: D3D8401E 180001EE
	v_accvgpr_read_b32 v31, a239                               // 00000000BFA0: D3D8401F 180001EF
	v_mul_f32_e32 v30, s47, v30                                // 00000000BFA8: 0A3C3C2F
	v_mul_f32_e32 v31, s47, v31                                // 00000000BFAC: 0A3E3E2F
	v_cmp_u_f32_e64 s[74:75], v30, v30                         // 00000000BFB0: D048004A 00023D1E
	v_bfe_u32 v248, v30, 16, 1                                 // 00000000BFB8: D1C800F8 0205211E
	v_add3_u32 v248, v30, v248, v251                           // 00000000BFC0: D1FF00F8 07EFF11E
	v_cndmask_b32_e64 v28, v248, v250, s[74:75]                // 00000000BFC8: D100001C 012BF5F8
	v_lshrrev_b32_e32 v28, 16, v28                             // 00000000BFD0: 20383890
	v_cmp_u_f32_e64 s[74:75], v31, v31                         // 00000000BFD4: D048004A 00023F1F
	v_bfe_u32 v248, v31, 16, 1                                 // 00000000BFDC: D1C800F8 0205211F
	v_add3_u32 v248, v31, v248, v251                           // 00000000BFE4: D1FF00F8 07EFF11F
	v_cndmask_b32_e64 v29, v248, v250, s[74:75]                // 00000000BFEC: D100001D 012BF5F8
	v_and_or_b32 v87, v29, v249, v28                           // 00000000BFF4: D2010057 0473F31D
	v_accvgpr_read_b32 v30, a240                               // 00000000BFFC: D3D8401E 180001F0
	v_accvgpr_read_b32 v31, a241                               // 00000000C004: D3D8401F 180001F1
	v_mul_f32_e32 v30, s47, v30                                // 00000000C00C: 0A3C3C2F
	v_mul_f32_e32 v31, s47, v31                                // 00000000C010: 0A3E3E2F
	v_cmp_u_f32_e64 s[74:75], v30, v30                         // 00000000C014: D048004A 00023D1E
	v_bfe_u32 v248, v30, 16, 1                                 // 00000000C01C: D1C800F8 0205211E
	v_add3_u32 v248, v30, v248, v251                           // 00000000C024: D1FF00F8 07EFF11E
	v_cndmask_b32_e64 v28, v248, v250, s[74:75]                // 00000000C02C: D100001C 012BF5F8
	v_lshrrev_b32_e32 v28, 16, v28                             // 00000000C034: 20383890
	v_cmp_u_f32_e64 s[74:75], v31, v31                         // 00000000C038: D048004A 00023F1F
	v_bfe_u32 v248, v31, 16, 1                                 // 00000000C040: D1C800F8 0205211F
	v_add3_u32 v248, v31, v248, v251                           // 00000000C048: D1FF00F8 07EFF11F
	v_cndmask_b32_e64 v29, v248, v250, s[74:75]                // 00000000C050: D100001D 012BF5F8
	v_and_or_b32 v88, v29, v249, v28                           // 00000000C058: D2010058 0473F31D
	v_accvgpr_read_b32 v30, a242                               // 00000000C060: D3D8401E 180001F2
	v_accvgpr_read_b32 v31, a243                               // 00000000C068: D3D8401F 180001F3
	v_mul_f32_e32 v30, s47, v30                                // 00000000C070: 0A3C3C2F
	v_mul_f32_e32 v31, s47, v31                                // 00000000C074: 0A3E3E2F
	v_cmp_u_f32_e64 s[74:75], v30, v30                         // 00000000C078: D048004A 00023D1E
	v_bfe_u32 v248, v30, 16, 1                                 // 00000000C080: D1C800F8 0205211E
	v_add3_u32 v248, v30, v248, v251                           // 00000000C088: D1FF00F8 07EFF11E
	v_cndmask_b32_e64 v28, v248, v250, s[74:75]                // 00000000C090: D100001C 012BF5F8
	v_lshrrev_b32_e32 v28, 16, v28                             // 00000000C098: 20383890
	v_cmp_u_f32_e64 s[74:75], v31, v31                         // 00000000C09C: D048004A 00023F1F
	v_bfe_u32 v248, v31, 16, 1                                 // 00000000C0A4: D1C800F8 0205211F
	v_add3_u32 v248, v31, v248, v251                           // 00000000C0AC: D1FF00F8 07EFF11F
	v_cndmask_b32_e64 v29, v248, v250, s[74:75]                // 00000000C0B4: D100001D 012BF5F8
	v_and_or_b32 v89, v29, v249, v28                           // 00000000C0BC: D2010059 0473F31D
	v_accvgpr_read_b32 v30, a244                               // 00000000C0C4: D3D8401E 180001F4
	v_accvgpr_read_b32 v31, a245                               // 00000000C0CC: D3D8401F 180001F5
	v_mul_f32_e32 v30, s47, v30                                // 00000000C0D4: 0A3C3C2F
	v_mul_f32_e32 v31, s47, v31                                // 00000000C0D8: 0A3E3E2F
	v_cmp_u_f32_e64 s[74:75], v30, v30                         // 00000000C0DC: D048004A 00023D1E
	v_bfe_u32 v248, v30, 16, 1                                 // 00000000C0E4: D1C800F8 0205211E
	v_add3_u32 v248, v30, v248, v251                           // 00000000C0EC: D1FF00F8 07EFF11E
	v_cndmask_b32_e64 v28, v248, v250, s[74:75]                // 00000000C0F4: D100001C 012BF5F8
	v_lshrrev_b32_e32 v28, 16, v28                             // 00000000C0FC: 20383890
	v_cmp_u_f32_e64 s[74:75], v31, v31                         // 00000000C100: D048004A 00023F1F
	v_bfe_u32 v248, v31, 16, 1                                 // 00000000C108: D1C800F8 0205211F
	v_add3_u32 v248, v31, v248, v251                           // 00000000C110: D1FF00F8 07EFF11F
	v_cndmask_b32_e64 v29, v248, v250, s[74:75]                // 00000000C118: D100001D 012BF5F8
	v_and_or_b32 v90, v29, v249, v28                           // 00000000C120: D201005A 0473F31D
	v_accvgpr_read_b32 v30, a246                               // 00000000C128: D3D8401E 180001F6
	v_accvgpr_read_b32 v31, a247                               // 00000000C130: D3D8401F 180001F7
	v_mul_f32_e32 v30, s47, v30                                // 00000000C138: 0A3C3C2F
	v_mul_f32_e32 v31, s47, v31                                // 00000000C13C: 0A3E3E2F
	v_cmp_u_f32_e64 s[74:75], v30, v30                         // 00000000C140: D048004A 00023D1E
	v_bfe_u32 v248, v30, 16, 1                                 // 00000000C148: D1C800F8 0205211E
	v_add3_u32 v248, v30, v248, v251                           // 00000000C150: D1FF00F8 07EFF11E
	v_cndmask_b32_e64 v28, v248, v250, s[74:75]                // 00000000C158: D100001C 012BF5F8
	v_lshrrev_b32_e32 v28, 16, v28                             // 00000000C160: 20383890
	v_cmp_u_f32_e64 s[74:75], v31, v31                         // 00000000C164: D048004A 00023F1F
	v_bfe_u32 v248, v31, 16, 1                                 // 00000000C16C: D1C800F8 0205211F
	v_add3_u32 v248, v31, v248, v251                           // 00000000C174: D1FF00F8 07EFF11F
	v_cndmask_b32_e64 v29, v248, v250, s[74:75]                // 00000000C17C: D100001D 012BF5F8
	v_and_or_b32 v91, v29, v249, v28                           // 00000000C184: D201005B 0473F31D
	v_accvgpr_read_b32 v30, a248                               // 00000000C18C: D3D8401E 180001F8
	v_accvgpr_read_b32 v31, a249                               // 00000000C194: D3D8401F 180001F9
	v_mul_f32_e32 v30, s47, v30                                // 00000000C19C: 0A3C3C2F
	v_mul_f32_e32 v31, s47, v31                                // 00000000C1A0: 0A3E3E2F
	v_cmp_u_f32_e64 s[74:75], v30, v30                         // 00000000C1A4: D048004A 00023D1E
	v_bfe_u32 v248, v30, 16, 1                                 // 00000000C1AC: D1C800F8 0205211E
	v_add3_u32 v248, v30, v248, v251                           // 00000000C1B4: D1FF00F8 07EFF11E
	v_cndmask_b32_e64 v28, v248, v250, s[74:75]                // 00000000C1BC: D100001C 012BF5F8
	v_lshrrev_b32_e32 v28, 16, v28                             // 00000000C1C4: 20383890
	v_cmp_u_f32_e64 s[74:75], v31, v31                         // 00000000C1C8: D048004A 00023F1F
	v_bfe_u32 v248, v31, 16, 1                                 // 00000000C1D0: D1C800F8 0205211F
	v_add3_u32 v248, v31, v248, v251                           // 00000000C1D8: D1FF00F8 07EFF11F
	v_cndmask_b32_e64 v29, v248, v250, s[74:75]                // 00000000C1E0: D100001D 012BF5F8
	v_and_or_b32 v92, v29, v249, v28                           // 00000000C1E8: D201005C 0473F31D
	v_accvgpr_read_b32 v30, a250                               // 00000000C1F0: D3D8401E 180001FA
	v_accvgpr_read_b32 v31, a251                               // 00000000C1F8: D3D8401F 180001FB
	v_mul_f32_e32 v30, s47, v30                                // 00000000C200: 0A3C3C2F
	v_mul_f32_e32 v31, s47, v31                                // 00000000C204: 0A3E3E2F
	v_cmp_u_f32_e64 s[74:75], v30, v30                         // 00000000C208: D048004A 00023D1E
	v_bfe_u32 v248, v30, 16, 1                                 // 00000000C210: D1C800F8 0205211E
	v_add3_u32 v248, v30, v248, v251                           // 00000000C218: D1FF00F8 07EFF11E
	v_cndmask_b32_e64 v28, v248, v250, s[74:75]                // 00000000C220: D100001C 012BF5F8
	v_lshrrev_b32_e32 v28, 16, v28                             // 00000000C228: 20383890
	v_cmp_u_f32_e64 s[74:75], v31, v31                         // 00000000C22C: D048004A 00023F1F
	v_bfe_u32 v248, v31, 16, 1                                 // 00000000C234: D1C800F8 0205211F
	v_add3_u32 v248, v31, v248, v251                           // 00000000C23C: D1FF00F8 07EFF11F
	v_cndmask_b32_e64 v29, v248, v250, s[74:75]                // 00000000C244: D100001D 012BF5F8
	v_and_or_b32 v93, v29, v249, v28                           // 00000000C24C: D201005D 0473F31D
	v_accvgpr_read_b32 v30, a252                               // 00000000C254: D3D8401E 180001FC
	v_accvgpr_read_b32 v31, a253                               // 00000000C25C: D3D8401F 180001FD
	v_mul_f32_e32 v30, s47, v30                                // 00000000C264: 0A3C3C2F
	v_mul_f32_e32 v31, s47, v31                                // 00000000C268: 0A3E3E2F
	v_cmp_u_f32_e64 s[74:75], v30, v30                         // 00000000C26C: D048004A 00023D1E
	v_bfe_u32 v248, v30, 16, 1                                 // 00000000C274: D1C800F8 0205211E
	v_add3_u32 v248, v30, v248, v251                           // 00000000C27C: D1FF00F8 07EFF11E
	v_cndmask_b32_e64 v28, v248, v250, s[74:75]                // 00000000C284: D100001C 012BF5F8
	v_lshrrev_b32_e32 v28, 16, v28                             // 00000000C28C: 20383890
	v_cmp_u_f32_e64 s[74:75], v31, v31                         // 00000000C290: D048004A 00023F1F
	v_bfe_u32 v248, v31, 16, 1                                 // 00000000C298: D1C800F8 0205211F
	v_add3_u32 v248, v31, v248, v251                           // 00000000C2A0: D1FF00F8 07EFF11F
	v_cndmask_b32_e64 v29, v248, v250, s[74:75]                // 00000000C2A8: D100001D 012BF5F8
	v_and_or_b32 v94, v29, v249, v28                           // 00000000C2B0: D201005E 0473F31D
	v_accvgpr_read_b32 v30, a254                               // 00000000C2B8: D3D8401E 180001FE
	v_accvgpr_read_b32 v31, a255                               // 00000000C2C0: D3D8401F 180001FF
	v_mul_f32_e32 v30, s47, v30                                // 00000000C2C8: 0A3C3C2F
	v_mul_f32_e32 v31, s47, v31                                // 00000000C2CC: 0A3E3E2F
	v_cmp_u_f32_e64 s[74:75], v30, v30                         // 00000000C2D0: D048004A 00023D1E
	v_bfe_u32 v248, v30, 16, 1                                 // 00000000C2D8: D1C800F8 0205211E
	v_add3_u32 v248, v30, v248, v251                           // 00000000C2E0: D1FF00F8 07EFF11E
	v_cndmask_b32_e64 v28, v248, v250, s[74:75]                // 00000000C2E8: D100001C 012BF5F8
	v_lshrrev_b32_e32 v28, 16, v28                             // 00000000C2F0: 20383890
	v_cmp_u_f32_e64 s[74:75], v31, v31                         // 00000000C2F4: D048004A 00023F1F
	v_bfe_u32 v248, v31, 16, 1                                 // 00000000C2FC: D1C800F8 0205211F
	v_add3_u32 v248, v31, v248, v251                           // 00000000C304: D1FF00F8 07EFF11F
	v_cndmask_b32_e64 v29, v248, v250, s[74:75]                // 00000000C30C: D100001D 012BF5F8
	v_and_or_b32 v95, v29, v249, v28                           // 00000000C314: D201005F 0473F31D
	ds_write_b64 v25, v[80:81] offset:33792                    // 00000000C31C: D89A8400 00005019
	ds_write_b64 v25, v[82:83] offset:34320                    // 00000000C324: D89A8610 00005219
	ds_write_b64 v25, v[84:85] offset:34848                    // 00000000C32C: D89A8820 00005419
	ds_write_b64 v25, v[86:87] offset:35376                    // 00000000C334: D89A8A30 00005619
	ds_write_b64 v25, v[88:89] offset:35904                    // 00000000C33C: D89A8C40 00005819
	ds_write_b64 v25, v[90:91] offset:36432                    // 00000000C344: D89A8E50 00005A19
	ds_write_b64 v25, v[92:93] offset:36960                    // 00000000C34C: D89A9060 00005C19
	ds_write_b64 v25, v[94:95] offset:37488                    // 00000000C354: D89A9270 00005E19
	s_waitcnt lgkmcnt(0)                                       // 00000000C35C: BF8CC07F
	s_barrier                                                  // 00000000C360: BF8A0000
	ds_read_b64 v[80:81], v24 offset:33792                     // 00000000C364: D8EC8400 50000018
	ds_read_b64 v[82:83], v24 offset:33920                     // 00000000C36C: D8EC8480 52000018
	ds_read_b64 v[84:85], v24 offset:33824                     // 00000000C374: D8EC8420 54000018
	ds_read_b64 v[86:87], v24 offset:33952                     // 00000000C37C: D8EC84A0 56000018
	ds_read_b64 v[88:89], v24 offset:33856                     // 00000000C384: D8EC8440 58000018
	ds_read_b64 v[90:91], v24 offset:33984                     // 00000000C38C: D8EC84C0 5A000018
	ds_read_b64 v[92:93], v24 offset:33888                     // 00000000C394: D8EC8460 5C000018
	ds_read_b64 v[94:95], v24 offset:34016                     // 00000000C39C: D8EC84E0 5E000018
	s_waitcnt lgkmcnt(0)                                       // 00000000C3A4: BF8CC07F
	s_mov_b32 s70, s52                                         // 00000000C3A8: BEC60034
	s_mov_b64 exec, s[90:91]                                   // 00000000C3AC: BEFE015A
	buffer_store_dwordx4 v[80:83], v5, s[36:39], 0 idxen       // 00000000C3B0: E07C2000 80095005
	s_mov_b64 exec, s[86:87]                                   // 00000000C3B8: BEFE0156
	v_add_u32_e32 v5, s70, v5                                  // 00000000C3BC: 680A0A46
	s_mov_b64 exec, s[90:91]                                   // 00000000C3C0: BEFE015A
	buffer_store_dwordx4 v[84:87], v5, s[36:39], 0 idxen       // 00000000C3C4: E07C2000 80095405
	s_mov_b64 exec, s[86:87]                                   // 00000000C3CC: BEFE0156
	v_add_u32_e32 v5, s70, v5                                  // 00000000C3D0: 680A0A46
	s_mov_b64 exec, s[90:91]                                   // 00000000C3D4: BEFE015A
	buffer_store_dwordx4 v[88:91], v5, s[36:39], 0 idxen       // 00000000C3D8: E07C2000 80095805
	s_mov_b64 exec, s[86:87]                                   // 00000000C3E0: BEFE0156
	v_add_u32_e32 v5, s70, v5                                  // 00000000C3E4: 680A0A46
	s_mov_b64 exec, s[90:91]                                   // 00000000C3E8: BEFE015A
	buffer_store_dwordx4 v[92:95], v5, s[36:39], 0 idxen       // 00000000C3EC: E07C2000 80095C05
	s_mov_b64 exec, s[86:87]                                   // 00000000C3F4: BEFE0156
	v_add_u32_e32 v5, s70, v5                                  // 00000000C3F8: 680A0A46
	s_mul_i32 s60, 12, s70                                     // 00000000C3FC: 923C468C
	v_add_u32_e32 v5, s60, v5                                  // 00000000C400: 680A0A3C
	s_barrier                                                  // 00000000C404: BF8A0000
	s_cmp_ge_i32 3, s73                                        // 00000000C408: BF034983
	s_cbranch_scc1 label_219C                                  // 00000000C40C: BF850000

000000000000c410 <label_219C>:
	v_mov_b32_e32 v30, v152                                    // 00000000C410: 7E3C0398
	v_mov_b32_e32 v31, v153                                    // 00000000C414: 7E3E0399
	v_cmp_u_f32_e64 s[74:75], v30, v30                         // 00000000C418: D048004A 00023D1E
	v_bfe_u32 v248, v30, 16, 1                                 // 00000000C420: D1C800F8 0205211E
	v_add3_u32 v248, v30, v248, v251                           // 00000000C428: D1FF00F8 07EFF11E
	v_cndmask_b32_e64 v28, v248, v250, s[74:75]                // 00000000C430: D100001C 012BF5F8
	v_lshrrev_b32_e32 v28, 16, v28                             // 00000000C438: 20383890
	v_cmp_u_f32_e64 s[74:75], v31, v31                         // 00000000C43C: D048004A 00023F1F
	v_bfe_u32 v248, v31, 16, 1                                 // 00000000C444: D1C800F8 0205211F
	v_add3_u32 v248, v31, v248, v251                           // 00000000C44C: D1FF00F8 07EFF11F
	v_cndmask_b32_e64 v29, v248, v250, s[74:75]                // 00000000C454: D100001D 012BF5F8
	v_and_or_b32 v152, v29, v249, v28                          // 00000000C45C: D2010098 0473F31D
	v_mov_b32_e32 v30, v154                                    // 00000000C464: 7E3C039A
	v_mov_b32_e32 v31, v155                                    // 00000000C468: 7E3E039B
	v_cmp_u_f32_e64 s[74:75], v30, v30                         // 00000000C46C: D048004A 00023D1E
	v_bfe_u32 v248, v30, 16, 1                                 // 00000000C474: D1C800F8 0205211E
	v_add3_u32 v248, v30, v248, v251                           // 00000000C47C: D1FF00F8 07EFF11E
	v_cndmask_b32_e64 v28, v248, v250, s[74:75]                // 00000000C484: D100001C 012BF5F8
	v_lshrrev_b32_e32 v28, 16, v28                             // 00000000C48C: 20383890
	v_cmp_u_f32_e64 s[74:75], v31, v31                         // 00000000C490: D048004A 00023F1F
	v_bfe_u32 v248, v31, 16, 1                                 // 00000000C498: D1C800F8 0205211F
	v_add3_u32 v248, v31, v248, v251                           // 00000000C4A0: D1FF00F8 07EFF11F
	v_cndmask_b32_e64 v29, v248, v250, s[74:75]                // 00000000C4A8: D100001D 012BF5F8
	v_and_or_b32 v153, v29, v249, v28                          // 00000000C4B0: D2010099 0473F31D
	v_mov_b32_e32 v30, v156                                    // 00000000C4B8: 7E3C039C
	v_mov_b32_e32 v31, v157                                    // 00000000C4BC: 7E3E039D
	v_cmp_u_f32_e64 s[74:75], v30, v30                         // 00000000C4C0: D048004A 00023D1E
	v_bfe_u32 v248, v30, 16, 1                                 // 00000000C4C8: D1C800F8 0205211E
	v_add3_u32 v248, v30, v248, v251                           // 00000000C4D0: D1FF00F8 07EFF11E
	v_cndmask_b32_e64 v28, v248, v250, s[74:75]                // 00000000C4D8: D100001C 012BF5F8
	v_lshrrev_b32_e32 v28, 16, v28                             // 00000000C4E0: 20383890
	v_cmp_u_f32_e64 s[74:75], v31, v31                         // 00000000C4E4: D048004A 00023F1F
	v_bfe_u32 v248, v31, 16, 1                                 // 00000000C4EC: D1C800F8 0205211F
	v_add3_u32 v248, v31, v248, v251                           // 00000000C4F4: D1FF00F8 07EFF11F
	v_cndmask_b32_e64 v29, v248, v250, s[74:75]                // 00000000C4FC: D100001D 012BF5F8
	v_and_or_b32 v154, v29, v249, v28                          // 00000000C504: D201009A 0473F31D
	v_mov_b32_e32 v30, v158                                    // 00000000C50C: 7E3C039E
	v_mov_b32_e32 v31, v159                                    // 00000000C510: 7E3E039F
	v_cmp_u_f32_e64 s[74:75], v30, v30                         // 00000000C514: D048004A 00023D1E
	v_bfe_u32 v248, v30, 16, 1                                 // 00000000C51C: D1C800F8 0205211E
	v_add3_u32 v248, v30, v248, v251                           // 00000000C524: D1FF00F8 07EFF11E
	v_cndmask_b32_e64 v28, v248, v250, s[74:75]                // 00000000C52C: D100001C 012BF5F8
	v_lshrrev_b32_e32 v28, 16, v28                             // 00000000C534: 20383890
	v_cmp_u_f32_e64 s[74:75], v31, v31                         // 00000000C538: D048004A 00023F1F
	v_bfe_u32 v248, v31, 16, 1                                 // 00000000C540: D1C800F8 0205211F
	v_add3_u32 v248, v31, v248, v251                           // 00000000C548: D1FF00F8 07EFF11F
	v_cndmask_b32_e64 v29, v248, v250, s[74:75]                // 00000000C550: D100001D 012BF5F8
	v_and_or_b32 v155, v29, v249, v28                          // 00000000C558: D201009B 0473F31D
	v_mov_b32_e32 v30, v160                                    // 00000000C560: 7E3C03A0
	v_mov_b32_e32 v31, v161                                    // 00000000C564: 7E3E03A1
	v_cmp_u_f32_e64 s[74:75], v30, v30                         // 00000000C568: D048004A 00023D1E
	v_bfe_u32 v248, v30, 16, 1                                 // 00000000C570: D1C800F8 0205211E
	v_add3_u32 v248, v30, v248, v251                           // 00000000C578: D1FF00F8 07EFF11E
	v_cndmask_b32_e64 v28, v248, v250, s[74:75]                // 00000000C580: D100001C 012BF5F8
	v_lshrrev_b32_e32 v28, 16, v28                             // 00000000C588: 20383890
	v_cmp_u_f32_e64 s[74:75], v31, v31                         // 00000000C58C: D048004A 00023F1F
	v_bfe_u32 v248, v31, 16, 1                                 // 00000000C594: D1C800F8 0205211F
	v_add3_u32 v248, v31, v248, v251                           // 00000000C59C: D1FF00F8 07EFF11F
	v_cndmask_b32_e64 v29, v248, v250, s[74:75]                // 00000000C5A4: D100001D 012BF5F8
	v_and_or_b32 v156, v29, v249, v28                          // 00000000C5AC: D201009C 0473F31D
	v_mov_b32_e32 v30, v162                                    // 00000000C5B4: 7E3C03A2
	v_mov_b32_e32 v31, v163                                    // 00000000C5B8: 7E3E03A3
	v_cmp_u_f32_e64 s[74:75], v30, v30                         // 00000000C5BC: D048004A 00023D1E
	v_bfe_u32 v248, v30, 16, 1                                 // 00000000C5C4: D1C800F8 0205211E
	v_add3_u32 v248, v30, v248, v251                           // 00000000C5CC: D1FF00F8 07EFF11E
	v_cndmask_b32_e64 v28, v248, v250, s[74:75]                // 00000000C5D4: D100001C 012BF5F8
	v_lshrrev_b32_e32 v28, 16, v28                             // 00000000C5DC: 20383890
	v_cmp_u_f32_e64 s[74:75], v31, v31                         // 00000000C5E0: D048004A 00023F1F
	v_bfe_u32 v248, v31, 16, 1                                 // 00000000C5E8: D1C800F8 0205211F
	v_add3_u32 v248, v31, v248, v251                           // 00000000C5F0: D1FF00F8 07EFF11F
	v_cndmask_b32_e64 v29, v248, v250, s[74:75]                // 00000000C5F8: D100001D 012BF5F8
	v_and_or_b32 v157, v29, v249, v28                          // 00000000C600: D201009D 0473F31D
	v_mov_b32_e32 v30, v164                                    // 00000000C608: 7E3C03A4
	v_mov_b32_e32 v31, v165                                    // 00000000C60C: 7E3E03A5
	v_cmp_u_f32_e64 s[74:75], v30, v30                         // 00000000C610: D048004A 00023D1E
	v_bfe_u32 v248, v30, 16, 1                                 // 00000000C618: D1C800F8 0205211E
	v_add3_u32 v248, v30, v248, v251                           // 00000000C620: D1FF00F8 07EFF11E
	v_cndmask_b32_e64 v28, v248, v250, s[74:75]                // 00000000C628: D100001C 012BF5F8
	v_lshrrev_b32_e32 v28, 16, v28                             // 00000000C630: 20383890
	v_cmp_u_f32_e64 s[74:75], v31, v31                         // 00000000C634: D048004A 00023F1F
	v_bfe_u32 v248, v31, 16, 1                                 // 00000000C63C: D1C800F8 0205211F
	v_add3_u32 v248, v31, v248, v251                           // 00000000C644: D1FF00F8 07EFF11F
	v_cndmask_b32_e64 v29, v248, v250, s[74:75]                // 00000000C64C: D100001D 012BF5F8
	v_and_or_b32 v158, v29, v249, v28                          // 00000000C654: D201009E 0473F31D
	v_mov_b32_e32 v30, v166                                    // 00000000C65C: 7E3C03A6
	v_mov_b32_e32 v31, v167                                    // 00000000C660: 7E3E03A7
	v_cmp_u_f32_e64 s[74:75], v30, v30                         // 00000000C664: D048004A 00023D1E
	v_bfe_u32 v248, v30, 16, 1                                 // 00000000C66C: D1C800F8 0205211E
	v_add3_u32 v248, v30, v248, v251                           // 00000000C674: D1FF00F8 07EFF11E
	v_cndmask_b32_e64 v28, v248, v250, s[74:75]                // 00000000C67C: D100001C 012BF5F8
	v_lshrrev_b32_e32 v28, 16, v28                             // 00000000C684: 20383890
	v_cmp_u_f32_e64 s[74:75], v31, v31                         // 00000000C688: D048004A 00023F1F
	v_bfe_u32 v248, v31, 16, 1                                 // 00000000C690: D1C800F8 0205211F
	v_add3_u32 v248, v31, v248, v251                           // 00000000C698: D1FF00F8 07EFF11F
	v_cndmask_b32_e64 v29, v248, v250, s[74:75]                // 00000000C6A0: D100001D 012BF5F8
	v_and_or_b32 v159, v29, v249, v28                          // 00000000C6A8: D201009F 0473F31D
	v_mov_b32_e32 v30, v168                                    // 00000000C6B0: 7E3C03A8
	v_mov_b32_e32 v31, v169                                    // 00000000C6B4: 7E3E03A9
	v_cmp_u_f32_e64 s[74:75], v30, v30                         // 00000000C6B8: D048004A 00023D1E
	v_bfe_u32 v248, v30, 16, 1                                 // 00000000C6C0: D1C800F8 0205211E
	v_add3_u32 v248, v30, v248, v251                           // 00000000C6C8: D1FF00F8 07EFF11E
	v_cndmask_b32_e64 v28, v248, v250, s[74:75]                // 00000000C6D0: D100001C 012BF5F8
	v_lshrrev_b32_e32 v28, 16, v28                             // 00000000C6D8: 20383890
	v_cmp_u_f32_e64 s[74:75], v31, v31                         // 00000000C6DC: D048004A 00023F1F
	v_bfe_u32 v248, v31, 16, 1                                 // 00000000C6E4: D1C800F8 0205211F
	v_add3_u32 v248, v31, v248, v251                           // 00000000C6EC: D1FF00F8 07EFF11F
	v_cndmask_b32_e64 v29, v248, v250, s[74:75]                // 00000000C6F4: D100001D 012BF5F8
	v_and_or_b32 v160, v29, v249, v28                          // 00000000C6FC: D20100A0 0473F31D
	v_mov_b32_e32 v30, v170                                    // 00000000C704: 7E3C03AA
	v_mov_b32_e32 v31, v171                                    // 00000000C708: 7E3E03AB
	v_cmp_u_f32_e64 s[74:75], v30, v30                         // 00000000C70C: D048004A 00023D1E
	v_bfe_u32 v248, v30, 16, 1                                 // 00000000C714: D1C800F8 0205211E
	v_add3_u32 v248, v30, v248, v251                           // 00000000C71C: D1FF00F8 07EFF11E
	v_cndmask_b32_e64 v28, v248, v250, s[74:75]                // 00000000C724: D100001C 012BF5F8
	v_lshrrev_b32_e32 v28, 16, v28                             // 00000000C72C: 20383890
	v_cmp_u_f32_e64 s[74:75], v31, v31                         // 00000000C730: D048004A 00023F1F
	v_bfe_u32 v248, v31, 16, 1                                 // 00000000C738: D1C800F8 0205211F
	v_add3_u32 v248, v31, v248, v251                           // 00000000C740: D1FF00F8 07EFF11F
	v_cndmask_b32_e64 v29, v248, v250, s[74:75]                // 00000000C748: D100001D 012BF5F8
	v_and_or_b32 v161, v29, v249, v28                          // 00000000C750: D20100A1 0473F31D
	v_mov_b32_e32 v30, v172                                    // 00000000C758: 7E3C03AC
	v_mov_b32_e32 v31, v173                                    // 00000000C75C: 7E3E03AD
	v_cmp_u_f32_e64 s[74:75], v30, v30                         // 00000000C760: D048004A 00023D1E
	v_bfe_u32 v248, v30, 16, 1                                 // 00000000C768: D1C800F8 0205211E
	v_add3_u32 v248, v30, v248, v251                           // 00000000C770: D1FF00F8 07EFF11E
	v_cndmask_b32_e64 v28, v248, v250, s[74:75]                // 00000000C778: D100001C 012BF5F8
	v_lshrrev_b32_e32 v28, 16, v28                             // 00000000C780: 20383890
	v_cmp_u_f32_e64 s[74:75], v31, v31                         // 00000000C784: D048004A 00023F1F
	v_bfe_u32 v248, v31, 16, 1                                 // 00000000C78C: D1C800F8 0205211F
	v_add3_u32 v248, v31, v248, v251                           // 00000000C794: D1FF00F8 07EFF11F
	v_cndmask_b32_e64 v29, v248, v250, s[74:75]                // 00000000C79C: D100001D 012BF5F8
	v_and_or_b32 v162, v29, v249, v28                          // 00000000C7A4: D20100A2 0473F31D
	v_mov_b32_e32 v30, v174                                    // 00000000C7AC: 7E3C03AE
	v_mov_b32_e32 v31, v175                                    // 00000000C7B0: 7E3E03AF
	v_cmp_u_f32_e64 s[74:75], v30, v30                         // 00000000C7B4: D048004A 00023D1E
	v_bfe_u32 v248, v30, 16, 1                                 // 00000000C7BC: D1C800F8 0205211E
	v_add3_u32 v248, v30, v248, v251                           // 00000000C7C4: D1FF00F8 07EFF11E
	v_cndmask_b32_e64 v28, v248, v250, s[74:75]                // 00000000C7CC: D100001C 012BF5F8
	v_lshrrev_b32_e32 v28, 16, v28                             // 00000000C7D4: 20383890
	v_cmp_u_f32_e64 s[74:75], v31, v31                         // 00000000C7D8: D048004A 00023F1F
	v_bfe_u32 v248, v31, 16, 1                                 // 00000000C7E0: D1C800F8 0205211F
	v_add3_u32 v248, v31, v248, v251                           // 00000000C7E8: D1FF00F8 07EFF11F
	v_cndmask_b32_e64 v29, v248, v250, s[74:75]                // 00000000C7F0: D100001D 012BF5F8
	v_and_or_b32 v163, v29, v249, v28                          // 00000000C7F8: D20100A3 0473F31D
	v_mov_b32_e32 v30, v176                                    // 00000000C800: 7E3C03B0
	v_mov_b32_e32 v31, v177                                    // 00000000C804: 7E3E03B1
	v_cmp_u_f32_e64 s[74:75], v30, v30                         // 00000000C808: D048004A 00023D1E
	v_bfe_u32 v248, v30, 16, 1                                 // 00000000C810: D1C800F8 0205211E
	v_add3_u32 v248, v30, v248, v251                           // 00000000C818: D1FF00F8 07EFF11E
	v_cndmask_b32_e64 v28, v248, v250, s[74:75]                // 00000000C820: D100001C 012BF5F8
	v_lshrrev_b32_e32 v28, 16, v28                             // 00000000C828: 20383890
	v_cmp_u_f32_e64 s[74:75], v31, v31                         // 00000000C82C: D048004A 00023F1F
	v_bfe_u32 v248, v31, 16, 1                                 // 00000000C834: D1C800F8 0205211F
	v_add3_u32 v248, v31, v248, v251                           // 00000000C83C: D1FF00F8 07EFF11F
	v_cndmask_b32_e64 v29, v248, v250, s[74:75]                // 00000000C844: D100001D 012BF5F8
	v_and_or_b32 v164, v29, v249, v28                          // 00000000C84C: D20100A4 0473F31D
	v_mov_b32_e32 v30, v178                                    // 00000000C854: 7E3C03B2
	v_mov_b32_e32 v31, v179                                    // 00000000C858: 7E3E03B3
	v_cmp_u_f32_e64 s[74:75], v30, v30                         // 00000000C85C: D048004A 00023D1E
	v_bfe_u32 v248, v30, 16, 1                                 // 00000000C864: D1C800F8 0205211E
	v_add3_u32 v248, v30, v248, v251                           // 00000000C86C: D1FF00F8 07EFF11E
	v_cndmask_b32_e64 v28, v248, v250, s[74:75]                // 00000000C874: D100001C 012BF5F8
	v_lshrrev_b32_e32 v28, 16, v28                             // 00000000C87C: 20383890
	v_cmp_u_f32_e64 s[74:75], v31, v31                         // 00000000C880: D048004A 00023F1F
	v_bfe_u32 v248, v31, 16, 1                                 // 00000000C888: D1C800F8 0205211F
	v_add3_u32 v248, v31, v248, v251                           // 00000000C890: D1FF00F8 07EFF11F
	v_cndmask_b32_e64 v29, v248, v250, s[74:75]                // 00000000C898: D100001D 012BF5F8
	v_and_or_b32 v165, v29, v249, v28                          // 00000000C8A0: D20100A5 0473F31D
	v_mov_b32_e32 v30, v180                                    // 00000000C8A8: 7E3C03B4
	v_mov_b32_e32 v31, v181                                    // 00000000C8AC: 7E3E03B5
	v_cmp_u_f32_e64 s[74:75], v30, v30                         // 00000000C8B0: D048004A 00023D1E
	v_bfe_u32 v248, v30, 16, 1                                 // 00000000C8B8: D1C800F8 0205211E
	v_add3_u32 v248, v30, v248, v251                           // 00000000C8C0: D1FF00F8 07EFF11E
	v_cndmask_b32_e64 v28, v248, v250, s[74:75]                // 00000000C8C8: D100001C 012BF5F8
	v_lshrrev_b32_e32 v28, 16, v28                             // 00000000C8D0: 20383890
	v_cmp_u_f32_e64 s[74:75], v31, v31                         // 00000000C8D4: D048004A 00023F1F
	v_bfe_u32 v248, v31, 16, 1                                 // 00000000C8DC: D1C800F8 0205211F
	v_add3_u32 v248, v31, v248, v251                           // 00000000C8E4: D1FF00F8 07EFF11F
	v_cndmask_b32_e64 v29, v248, v250, s[74:75]                // 00000000C8EC: D100001D 012BF5F8
	v_and_or_b32 v166, v29, v249, v28                          // 00000000C8F4: D20100A6 0473F31D
	v_mov_b32_e32 v30, v182                                    // 00000000C8FC: 7E3C03B6
	v_mov_b32_e32 v31, v183                                    // 00000000C900: 7E3E03B7
	v_cmp_u_f32_e64 s[74:75], v30, v30                         // 00000000C904: D048004A 00023D1E
	v_bfe_u32 v248, v30, 16, 1                                 // 00000000C90C: D1C800F8 0205211E
	v_add3_u32 v248, v30, v248, v251                           // 00000000C914: D1FF00F8 07EFF11E
	v_cndmask_b32_e64 v28, v248, v250, s[74:75]                // 00000000C91C: D100001C 012BF5F8
	v_lshrrev_b32_e32 v28, 16, v28                             // 00000000C924: 20383890
	v_cmp_u_f32_e64 s[74:75], v31, v31                         // 00000000C928: D048004A 00023F1F
	v_bfe_u32 v248, v31, 16, 1                                 // 00000000C930: D1C800F8 0205211F
	v_add3_u32 v248, v31, v248, v251                           // 00000000C938: D1FF00F8 07EFF11F
	v_cndmask_b32_e64 v29, v248, v250, s[74:75]                // 00000000C940: D100001D 012BF5F8
	v_and_or_b32 v167, v29, v249, v28                          // 00000000C948: D20100A7 0473F31D
	ds_write_b64 v25, v[152:153]                               // 00000000C950: D89A0000 00009819
	ds_write_b64 v25, v[154:155] offset:528                    // 00000000C958: D89A0210 00009A19
	ds_write_b64 v25, v[156:157] offset:1056                   // 00000000C960: D89A0420 00009C19
	ds_write_b64 v25, v[158:159] offset:1584                   // 00000000C968: D89A0630 00009E19
	ds_write_b64 v25, v[160:161] offset:2112                   // 00000000C970: D89A0840 0000A019
	ds_write_b64 v25, v[162:163] offset:2640                   // 00000000C978: D89A0A50 0000A219
	ds_write_b64 v25, v[164:165] offset:3168                   // 00000000C980: D89A0C60 0000A419
	ds_write_b64 v25, v[166:167] offset:3696                   // 00000000C988: D89A0E70 0000A619
	s_waitcnt lgkmcnt(0)                                       // 00000000C990: BF8CC07F
	s_barrier                                                  // 00000000C994: BF8A0000
	ds_read_b64 v[152:153], v24                                // 00000000C998: D8EC0000 98000018
	ds_read_b64 v[154:155], v24 offset:128                     // 00000000C9A0: D8EC0080 9A000018
	ds_read_b64 v[156:157], v24 offset:32                      // 00000000C9A8: D8EC0020 9C000018
	ds_read_b64 v[158:159], v24 offset:160                     // 00000000C9B0: D8EC00A0 9E000018
	ds_read_b64 v[160:161], v24 offset:64                      // 00000000C9B8: D8EC0040 A0000018
	ds_read_b64 v[162:163], v24 offset:192                     // 00000000C9C0: D8EC00C0 A2000018
	ds_read_b64 v[164:165], v24 offset:96                      // 00000000C9C8: D8EC0060 A4000018
	ds_read_b64 v[166:167], v24 offset:224                     // 00000000C9D0: D8EC00E0 A6000018
	s_waitcnt lgkmcnt(0)                                       // 00000000C9D8: BF8CC07F
	s_mov_b32 s70, s53                                         // 00000000C9DC: BEC60035
	s_mov_b64 exec, s[90:91]                                   // 00000000C9E0: BEFE015A
	buffer_store_dwordx4 v[152:155], v6, s[40:43], 0 idxen     // 00000000C9E4: E07C2000 800A9806
	s_mov_b64 exec, s[86:87]                                   // 00000000C9EC: BEFE0156
	v_add_u32_e32 v6, s70, v6                                  // 00000000C9F0: 680C0C46
	s_mov_b64 exec, s[90:91]                                   // 00000000C9F4: BEFE015A
	buffer_store_dwordx4 v[156:159], v6, s[40:43], 0 idxen     // 00000000C9F8: E07C2000 800A9C06
	s_mov_b64 exec, s[86:87]                                   // 00000000CA00: BEFE0156
	v_add_u32_e32 v6, s70, v6                                  // 00000000CA04: 680C0C46
	s_mov_b64 exec, s[90:91]                                   // 00000000CA08: BEFE015A
	buffer_store_dwordx4 v[160:163], v6, s[40:43], 0 idxen     // 00000000CA0C: E07C2000 800AA006
	s_mov_b64 exec, s[86:87]                                   // 00000000CA14: BEFE0156
	v_add_u32_e32 v6, s70, v6                                  // 00000000CA18: 680C0C46
	s_mov_b64 exec, s[90:91]                                   // 00000000CA1C: BEFE015A
	buffer_store_dwordx4 v[164:167], v6, s[40:43], 0 idxen     // 00000000CA20: E07C2000 800AA406
	s_mov_b64 exec, s[86:87]                                   // 00000000CA28: BEFE0156
	v_add_u32_e32 v6, s70, v6                                  // 00000000CA2C: 680C0C46
	s_mul_i32 s60, 12, s70                                     // 00000000CA30: 923C468C
	v_add_u32_e32 v6, s60, v6                                  // 00000000CA34: 680C0C3C
	s_cmp_ge_i32 1, s73                                        // 00000000CA38: BF034981
	s_cbranch_scc1 label_2640                                  // 00000000CA3C: BF850318
	v_mov_b32_e32 v30, v184                                    // 00000000CA40: 7E3C03B8
	v_mov_b32_e32 v31, v185                                    // 00000000CA44: 7E3E03B9
	v_cmp_u_f32_e64 s[74:75], v30, v30                         // 00000000CA48: D048004A 00023D1E
	v_bfe_u32 v248, v30, 16, 1                                 // 00000000CA50: D1C800F8 0205211E
	v_add3_u32 v248, v30, v248, v251                           // 00000000CA58: D1FF00F8 07EFF11E
	v_cndmask_b32_e64 v28, v248, v250, s[74:75]                // 00000000CA60: D100001C 012BF5F8
	v_lshrrev_b32_e32 v28, 16, v28                             // 00000000CA68: 20383890
	v_cmp_u_f32_e64 s[74:75], v31, v31                         // 00000000CA6C: D048004A 00023F1F
	v_bfe_u32 v248, v31, 16, 1                                 // 00000000CA74: D1C800F8 0205211F
	v_add3_u32 v248, v31, v248, v251                           // 00000000CA7C: D1FF00F8 07EFF11F
	v_cndmask_b32_e64 v29, v248, v250, s[74:75]                // 00000000CA84: D100001D 012BF5F8
	v_and_or_b32 v168, v29, v249, v28                          // 00000000CA8C: D20100A8 0473F31D
	v_mov_b32_e32 v30, v186                                    // 00000000CA94: 7E3C03BA
	v_mov_b32_e32 v31, v187                                    // 00000000CA98: 7E3E03BB
	v_cmp_u_f32_e64 s[74:75], v30, v30                         // 00000000CA9C: D048004A 00023D1E
	v_bfe_u32 v248, v30, 16, 1                                 // 00000000CAA4: D1C800F8 0205211E
	v_add3_u32 v248, v30, v248, v251                           // 00000000CAAC: D1FF00F8 07EFF11E
	v_cndmask_b32_e64 v28, v248, v250, s[74:75]                // 00000000CAB4: D100001C 012BF5F8
	v_lshrrev_b32_e32 v28, 16, v28                             // 00000000CABC: 20383890
	v_cmp_u_f32_e64 s[74:75], v31, v31                         // 00000000CAC0: D048004A 00023F1F
	v_bfe_u32 v248, v31, 16, 1                                 // 00000000CAC8: D1C800F8 0205211F
	v_add3_u32 v248, v31, v248, v251                           // 00000000CAD0: D1FF00F8 07EFF11F
	v_cndmask_b32_e64 v29, v248, v250, s[74:75]                // 00000000CAD8: D100001D 012BF5F8
	v_and_or_b32 v169, v29, v249, v28                          // 00000000CAE0: D20100A9 0473F31D
	v_mov_b32_e32 v30, v188                                    // 00000000CAE8: 7E3C03BC
	v_mov_b32_e32 v31, v189                                    // 00000000CAEC: 7E3E03BD
	v_cmp_u_f32_e64 s[74:75], v30, v30                         // 00000000CAF0: D048004A 00023D1E
	v_bfe_u32 v248, v30, 16, 1                                 // 00000000CAF8: D1C800F8 0205211E
	v_add3_u32 v248, v30, v248, v251                           // 00000000CB00: D1FF00F8 07EFF11E
	v_cndmask_b32_e64 v28, v248, v250, s[74:75]                // 00000000CB08: D100001C 012BF5F8
	v_lshrrev_b32_e32 v28, 16, v28                             // 00000000CB10: 20383890
	v_cmp_u_f32_e64 s[74:75], v31, v31                         // 00000000CB14: D048004A 00023F1F
	v_bfe_u32 v248, v31, 16, 1                                 // 00000000CB1C: D1C800F8 0205211F
	v_add3_u32 v248, v31, v248, v251                           // 00000000CB24: D1FF00F8 07EFF11F
	v_cndmask_b32_e64 v29, v248, v250, s[74:75]                // 00000000CB2C: D100001D 012BF5F8
	v_and_or_b32 v170, v29, v249, v28                          // 00000000CB34: D20100AA 0473F31D
	v_mov_b32_e32 v30, v190                                    // 00000000CB3C: 7E3C03BE
	v_mov_b32_e32 v31, v191                                    // 00000000CB40: 7E3E03BF
	v_cmp_u_f32_e64 s[74:75], v30, v30                         // 00000000CB44: D048004A 00023D1E
	v_bfe_u32 v248, v30, 16, 1                                 // 00000000CB4C: D1C800F8 0205211E
	v_add3_u32 v248, v30, v248, v251                           // 00000000CB54: D1FF00F8 07EFF11E
	v_cndmask_b32_e64 v28, v248, v250, s[74:75]                // 00000000CB5C: D100001C 012BF5F8
	v_lshrrev_b32_e32 v28, 16, v28                             // 00000000CB64: 20383890
	v_cmp_u_f32_e64 s[74:75], v31, v31                         // 00000000CB68: D048004A 00023F1F
	v_bfe_u32 v248, v31, 16, 1                                 // 00000000CB70: D1C800F8 0205211F
	v_add3_u32 v248, v31, v248, v251                           // 00000000CB78: D1FF00F8 07EFF11F
	v_cndmask_b32_e64 v29, v248, v250, s[74:75]                // 00000000CB80: D100001D 012BF5F8
	v_and_or_b32 v171, v29, v249, v28                          // 00000000CB88: D20100AB 0473F31D
	v_mov_b32_e32 v30, v192                                    // 00000000CB90: 7E3C03C0
	v_mov_b32_e32 v31, v193                                    // 00000000CB94: 7E3E03C1
	v_cmp_u_f32_e64 s[74:75], v30, v30                         // 00000000CB98: D048004A 00023D1E
	v_bfe_u32 v248, v30, 16, 1                                 // 00000000CBA0: D1C800F8 0205211E
	v_add3_u32 v248, v30, v248, v251                           // 00000000CBA8: D1FF00F8 07EFF11E
	v_cndmask_b32_e64 v28, v248, v250, s[74:75]                // 00000000CBB0: D100001C 012BF5F8
	v_lshrrev_b32_e32 v28, 16, v28                             // 00000000CBB8: 20383890
	v_cmp_u_f32_e64 s[74:75], v31, v31                         // 00000000CBBC: D048004A 00023F1F
	v_bfe_u32 v248, v31, 16, 1                                 // 00000000CBC4: D1C800F8 0205211F
	v_add3_u32 v248, v31, v248, v251                           // 00000000CBCC: D1FF00F8 07EFF11F
	v_cndmask_b32_e64 v29, v248, v250, s[74:75]                // 00000000CBD4: D100001D 012BF5F8
	v_and_or_b32 v172, v29, v249, v28                          // 00000000CBDC: D20100AC 0473F31D
	v_mov_b32_e32 v30, v194                                    // 00000000CBE4: 7E3C03C2
	v_mov_b32_e32 v31, v195                                    // 00000000CBE8: 7E3E03C3
	v_cmp_u_f32_e64 s[74:75], v30, v30                         // 00000000CBEC: D048004A 00023D1E
	v_bfe_u32 v248, v30, 16, 1                                 // 00000000CBF4: D1C800F8 0205211E
	v_add3_u32 v248, v30, v248, v251                           // 00000000CBFC: D1FF00F8 07EFF11E
	v_cndmask_b32_e64 v28, v248, v250, s[74:75]                // 00000000CC04: D100001C 012BF5F8
	v_lshrrev_b32_e32 v28, 16, v28                             // 00000000CC0C: 20383890
	v_cmp_u_f32_e64 s[74:75], v31, v31                         // 00000000CC10: D048004A 00023F1F
	v_bfe_u32 v248, v31, 16, 1                                 // 00000000CC18: D1C800F8 0205211F
	v_add3_u32 v248, v31, v248, v251                           // 00000000CC20: D1FF00F8 07EFF11F
	v_cndmask_b32_e64 v29, v248, v250, s[74:75]                // 00000000CC28: D100001D 012BF5F8
	v_and_or_b32 v173, v29, v249, v28                          // 00000000CC30: D20100AD 0473F31D
	v_mov_b32_e32 v30, v196                                    // 00000000CC38: 7E3C03C4
	v_mov_b32_e32 v31, v197                                    // 00000000CC3C: 7E3E03C5
	v_cmp_u_f32_e64 s[74:75], v30, v30                         // 00000000CC40: D048004A 00023D1E
	v_bfe_u32 v248, v30, 16, 1                                 // 00000000CC48: D1C800F8 0205211E
	v_add3_u32 v248, v30, v248, v251                           // 00000000CC50: D1FF00F8 07EFF11E
	v_cndmask_b32_e64 v28, v248, v250, s[74:75]                // 00000000CC58: D100001C 012BF5F8
	v_lshrrev_b32_e32 v28, 16, v28                             // 00000000CC60: 20383890
	v_cmp_u_f32_e64 s[74:75], v31, v31                         // 00000000CC64: D048004A 00023F1F
	v_bfe_u32 v248, v31, 16, 1                                 // 00000000CC6C: D1C800F8 0205211F
	v_add3_u32 v248, v31, v248, v251                           // 00000000CC74: D1FF00F8 07EFF11F
	v_cndmask_b32_e64 v29, v248, v250, s[74:75]                // 00000000CC7C: D100001D 012BF5F8
	v_and_or_b32 v174, v29, v249, v28                          // 00000000CC84: D20100AE 0473F31D
	v_mov_b32_e32 v30, v198                                    // 00000000CC8C: 7E3C03C6
	v_mov_b32_e32 v31, v199                                    // 00000000CC90: 7E3E03C7
	v_cmp_u_f32_e64 s[74:75], v30, v30                         // 00000000CC94: D048004A 00023D1E
	v_bfe_u32 v248, v30, 16, 1                                 // 00000000CC9C: D1C800F8 0205211E
	v_add3_u32 v248, v30, v248, v251                           // 00000000CCA4: D1FF00F8 07EFF11E
	v_cndmask_b32_e64 v28, v248, v250, s[74:75]                // 00000000CCAC: D100001C 012BF5F8
	v_lshrrev_b32_e32 v28, 16, v28                             // 00000000CCB4: 20383890
	v_cmp_u_f32_e64 s[74:75], v31, v31                         // 00000000CCB8: D048004A 00023F1F
	v_bfe_u32 v248, v31, 16, 1                                 // 00000000CCC0: D1C800F8 0205211F
	v_add3_u32 v248, v31, v248, v251                           // 00000000CCC8: D1FF00F8 07EFF11F
	v_cndmask_b32_e64 v29, v248, v250, s[74:75]                // 00000000CCD0: D100001D 012BF5F8
	v_and_or_b32 v175, v29, v249, v28                          // 00000000CCD8: D20100AF 0473F31D
	v_mov_b32_e32 v30, v200                                    // 00000000CCE0: 7E3C03C8
	v_mov_b32_e32 v31, v201                                    // 00000000CCE4: 7E3E03C9
	v_cmp_u_f32_e64 s[74:75], v30, v30                         // 00000000CCE8: D048004A 00023D1E
	v_bfe_u32 v248, v30, 16, 1                                 // 00000000CCF0: D1C800F8 0205211E
	v_add3_u32 v248, v30, v248, v251                           // 00000000CCF8: D1FF00F8 07EFF11E
	v_cndmask_b32_e64 v28, v248, v250, s[74:75]                // 00000000CD00: D100001C 012BF5F8
	v_lshrrev_b32_e32 v28, 16, v28                             // 00000000CD08: 20383890
	v_cmp_u_f32_e64 s[74:75], v31, v31                         // 00000000CD0C: D048004A 00023F1F
	v_bfe_u32 v248, v31, 16, 1                                 // 00000000CD14: D1C800F8 0205211F
	v_add3_u32 v248, v31, v248, v251                           // 00000000CD1C: D1FF00F8 07EFF11F
	v_cndmask_b32_e64 v29, v248, v250, s[74:75]                // 00000000CD24: D100001D 012BF5F8
	v_and_or_b32 v176, v29, v249, v28                          // 00000000CD2C: D20100B0 0473F31D
	v_mov_b32_e32 v30, v202                                    // 00000000CD34: 7E3C03CA
	v_mov_b32_e32 v31, v203                                    // 00000000CD38: 7E3E03CB
	v_cmp_u_f32_e64 s[74:75], v30, v30                         // 00000000CD3C: D048004A 00023D1E
	v_bfe_u32 v248, v30, 16, 1                                 // 00000000CD44: D1C800F8 0205211E
	v_add3_u32 v248, v30, v248, v251                           // 00000000CD4C: D1FF00F8 07EFF11E
	v_cndmask_b32_e64 v28, v248, v250, s[74:75]                // 00000000CD54: D100001C 012BF5F8
	v_lshrrev_b32_e32 v28, 16, v28                             // 00000000CD5C: 20383890
	v_cmp_u_f32_e64 s[74:75], v31, v31                         // 00000000CD60: D048004A 00023F1F
	v_bfe_u32 v248, v31, 16, 1                                 // 00000000CD68: D1C800F8 0205211F
	v_add3_u32 v248, v31, v248, v251                           // 00000000CD70: D1FF00F8 07EFF11F
	v_cndmask_b32_e64 v29, v248, v250, s[74:75]                // 00000000CD78: D100001D 012BF5F8
	v_and_or_b32 v177, v29, v249, v28                          // 00000000CD80: D20100B1 0473F31D
	v_mov_b32_e32 v30, v204                                    // 00000000CD88: 7E3C03CC
	v_mov_b32_e32 v31, v205                                    // 00000000CD8C: 7E3E03CD
	v_cmp_u_f32_e64 s[74:75], v30, v30                         // 00000000CD90: D048004A 00023D1E
	v_bfe_u32 v248, v30, 16, 1                                 // 00000000CD98: D1C800F8 0205211E
	v_add3_u32 v248, v30, v248, v251                           // 00000000CDA0: D1FF00F8 07EFF11E
	v_cndmask_b32_e64 v28, v248, v250, s[74:75]                // 00000000CDA8: D100001C 012BF5F8
	v_lshrrev_b32_e32 v28, 16, v28                             // 00000000CDB0: 20383890
	v_cmp_u_f32_e64 s[74:75], v31, v31                         // 00000000CDB4: D048004A 00023F1F
	v_bfe_u32 v248, v31, 16, 1                                 // 00000000CDBC: D1C800F8 0205211F
	v_add3_u32 v248, v31, v248, v251                           // 00000000CDC4: D1FF00F8 07EFF11F
	v_cndmask_b32_e64 v29, v248, v250, s[74:75]                // 00000000CDCC: D100001D 012BF5F8
	v_and_or_b32 v178, v29, v249, v28                          // 00000000CDD4: D20100B2 0473F31D
	v_mov_b32_e32 v30, v206                                    // 00000000CDDC: 7E3C03CE
	v_mov_b32_e32 v31, v207                                    // 00000000CDE0: 7E3E03CF
	v_cmp_u_f32_e64 s[74:75], v30, v30                         // 00000000CDE4: D048004A 00023D1E
	v_bfe_u32 v248, v30, 16, 1                                 // 00000000CDEC: D1C800F8 0205211E
	v_add3_u32 v248, v30, v248, v251                           // 00000000CDF4: D1FF00F8 07EFF11E
	v_cndmask_b32_e64 v28, v248, v250, s[74:75]                // 00000000CDFC: D100001C 012BF5F8
	v_lshrrev_b32_e32 v28, 16, v28                             // 00000000CE04: 20383890
	v_cmp_u_f32_e64 s[74:75], v31, v31                         // 00000000CE08: D048004A 00023F1F
	v_bfe_u32 v248, v31, 16, 1                                 // 00000000CE10: D1C800F8 0205211F
	v_add3_u32 v248, v31, v248, v251                           // 00000000CE18: D1FF00F8 07EFF11F
	v_cndmask_b32_e64 v29, v248, v250, s[74:75]                // 00000000CE20: D100001D 012BF5F8
	v_and_or_b32 v179, v29, v249, v28                          // 00000000CE28: D20100B3 0473F31D
	v_mov_b32_e32 v30, v208                                    // 00000000CE30: 7E3C03D0
	v_mov_b32_e32 v31, v209                                    // 00000000CE34: 7E3E03D1
	v_cmp_u_f32_e64 s[74:75], v30, v30                         // 00000000CE38: D048004A 00023D1E
	v_bfe_u32 v248, v30, 16, 1                                 // 00000000CE40: D1C800F8 0205211E
	v_add3_u32 v248, v30, v248, v251                           // 00000000CE48: D1FF00F8 07EFF11E
	v_cndmask_b32_e64 v28, v248, v250, s[74:75]                // 00000000CE50: D100001C 012BF5F8
	v_lshrrev_b32_e32 v28, 16, v28                             // 00000000CE58: 20383890
	v_cmp_u_f32_e64 s[74:75], v31, v31                         // 00000000CE5C: D048004A 00023F1F
	v_bfe_u32 v248, v31, 16, 1                                 // 00000000CE64: D1C800F8 0205211F
	v_add3_u32 v248, v31, v248, v251                           // 00000000CE6C: D1FF00F8 07EFF11F
	v_cndmask_b32_e64 v29, v248, v250, s[74:75]                // 00000000CE74: D100001D 012BF5F8
	v_and_or_b32 v180, v29, v249, v28                          // 00000000CE7C: D20100B4 0473F31D
	v_mov_b32_e32 v30, v210                                    // 00000000CE84: 7E3C03D2
	v_mov_b32_e32 v31, v211                                    // 00000000CE88: 7E3E03D3
	v_cmp_u_f32_e64 s[74:75], v30, v30                         // 00000000CE8C: D048004A 00023D1E
	v_bfe_u32 v248, v30, 16, 1                                 // 00000000CE94: D1C800F8 0205211E
	v_add3_u32 v248, v30, v248, v251                           // 00000000CE9C: D1FF00F8 07EFF11E
	v_cndmask_b32_e64 v28, v248, v250, s[74:75]                // 00000000CEA4: D100001C 012BF5F8
	v_lshrrev_b32_e32 v28, 16, v28                             // 00000000CEAC: 20383890
	v_cmp_u_f32_e64 s[74:75], v31, v31                         // 00000000CEB0: D048004A 00023F1F
	v_bfe_u32 v248, v31, 16, 1                                 // 00000000CEB8: D1C800F8 0205211F
	v_add3_u32 v248, v31, v248, v251                           // 00000000CEC0: D1FF00F8 07EFF11F
	v_cndmask_b32_e64 v29, v248, v250, s[74:75]                // 00000000CEC8: D100001D 012BF5F8
	v_and_or_b32 v181, v29, v249, v28                          // 00000000CED0: D20100B5 0473F31D
	v_mov_b32_e32 v30, v212                                    // 00000000CED8: 7E3C03D4
	v_mov_b32_e32 v31, v213                                    // 00000000CEDC: 7E3E03D5
	v_cmp_u_f32_e64 s[74:75], v30, v30                         // 00000000CEE0: D048004A 00023D1E
	v_bfe_u32 v248, v30, 16, 1                                 // 00000000CEE8: D1C800F8 0205211E
	v_add3_u32 v248, v30, v248, v251                           // 00000000CEF0: D1FF00F8 07EFF11E
	v_cndmask_b32_e64 v28, v248, v250, s[74:75]                // 00000000CEF8: D100001C 012BF5F8
	v_lshrrev_b32_e32 v28, 16, v28                             // 00000000CF00: 20383890
	v_cmp_u_f32_e64 s[74:75], v31, v31                         // 00000000CF04: D048004A 00023F1F
	v_bfe_u32 v248, v31, 16, 1                                 // 00000000CF0C: D1C800F8 0205211F
	v_add3_u32 v248, v31, v248, v251                           // 00000000CF14: D1FF00F8 07EFF11F
	v_cndmask_b32_e64 v29, v248, v250, s[74:75]                // 00000000CF1C: D100001D 012BF5F8
	v_and_or_b32 v182, v29, v249, v28                          // 00000000CF24: D20100B6 0473F31D
	v_mov_b32_e32 v30, v214                                    // 00000000CF2C: 7E3C03D6
	v_mov_b32_e32 v31, v215                                    // 00000000CF30: 7E3E03D7
	v_cmp_u_f32_e64 s[74:75], v30, v30                         // 00000000CF34: D048004A 00023D1E
	v_bfe_u32 v248, v30, 16, 1                                 // 00000000CF3C: D1C800F8 0205211E
	v_add3_u32 v248, v30, v248, v251                           // 00000000CF44: D1FF00F8 07EFF11E
	v_cndmask_b32_e64 v28, v248, v250, s[74:75]                // 00000000CF4C: D100001C 012BF5F8
	v_lshrrev_b32_e32 v28, 16, v28                             // 00000000CF54: 20383890
	v_cmp_u_f32_e64 s[74:75], v31, v31                         // 00000000CF58: D048004A 00023F1F
	v_bfe_u32 v248, v31, 16, 1                                 // 00000000CF60: D1C800F8 0205211F
	v_add3_u32 v248, v31, v248, v251                           // 00000000CF68: D1FF00F8 07EFF11F
	v_cndmask_b32_e64 v29, v248, v250, s[74:75]                // 00000000CF70: D100001D 012BF5F8
	v_and_or_b32 v183, v29, v249, v28                          // 00000000CF78: D20100B7 0473F31D
	ds_write_b64 v25, v[168:169] offset:16896                  // 00000000CF80: D89A4200 0000A819
	ds_write_b64 v25, v[170:171] offset:17424                  // 00000000CF88: D89A4410 0000AA19
	ds_write_b64 v25, v[172:173] offset:17952                  // 00000000CF90: D89A4620 0000AC19
	ds_write_b64 v25, v[174:175] offset:18480                  // 00000000CF98: D89A4830 0000AE19
	ds_write_b64 v25, v[176:177] offset:19008                  // 00000000CFA0: D89A4A40 0000B019
	ds_write_b64 v25, v[178:179] offset:19536                  // 00000000CFA8: D89A4C50 0000B219
	ds_write_b64 v25, v[180:181] offset:20064                  // 00000000CFB0: D89A4E60 0000B419
	ds_write_b64 v25, v[182:183] offset:20592                  // 00000000CFB8: D89A5070 0000B619
	s_waitcnt lgkmcnt(0)                                       // 00000000CFC0: BF8CC07F
	s_barrier                                                  // 00000000CFC4: BF8A0000
	ds_read_b64 v[168:169], v24 offset:16896                   // 00000000CFC8: D8EC4200 A8000018
	ds_read_b64 v[170:171], v24 offset:17024                   // 00000000CFD0: D8EC4280 AA000018
	ds_read_b64 v[172:173], v24 offset:16928                   // 00000000CFD8: D8EC4220 AC000018
	ds_read_b64 v[174:175], v24 offset:17056                   // 00000000CFE0: D8EC42A0 AE000018
	ds_read_b64 v[176:177], v24 offset:16960                   // 00000000CFE8: D8EC4240 B0000018
	ds_read_b64 v[178:179], v24 offset:17088                   // 00000000CFF0: D8EC42C0 B2000018
	ds_read_b64 v[180:181], v24 offset:16992                   // 00000000CFF8: D8EC4260 B4000018
	ds_read_b64 v[182:183], v24 offset:17120                   // 00000000D000: D8EC42E0 B6000018
	s_waitcnt lgkmcnt(0)                                       // 00000000D008: BF8CC07F
	s_mov_b32 s70, s53                                         // 00000000D00C: BEC60035
	s_mov_b64 exec, s[90:91]                                   // 00000000D010: BEFE015A
	buffer_store_dwordx4 v[168:171], v6, s[40:43], 0 idxen     // 00000000D014: E07C2000 800AA806
	s_mov_b64 exec, s[86:87]                                   // 00000000D01C: BEFE0156
	v_add_u32_e32 v6, s70, v6                                  // 00000000D020: 680C0C46
	s_mov_b64 exec, s[90:91]                                   // 00000000D024: BEFE015A
	buffer_store_dwordx4 v[172:175], v6, s[40:43], 0 idxen     // 00000000D028: E07C2000 800AAC06
	s_mov_b64 exec, s[86:87]                                   // 00000000D030: BEFE0156
	v_add_u32_e32 v6, s70, v6                                  // 00000000D034: 680C0C46
	s_mov_b64 exec, s[90:91]                                   // 00000000D038: BEFE015A
	buffer_store_dwordx4 v[176:179], v6, s[40:43], 0 idxen     // 00000000D03C: E07C2000 800AB006
	s_mov_b64 exec, s[86:87]                                   // 00000000D044: BEFE0156
	v_add_u32_e32 v6, s70, v6                                  // 00000000D048: 680C0C46
	s_mov_b64 exec, s[90:91]                                   // 00000000D04C: BEFE015A
	buffer_store_dwordx4 v[180:183], v6, s[40:43], 0 idxen     // 00000000D050: E07C2000 800AB406
	s_mov_b64 exec, s[86:87]                                   // 00000000D058: BEFE0156
	v_add_u32_e32 v6, s70, v6                                  // 00000000D05C: 680C0C46
	s_mul_i32 s60, 12, s70                                     // 00000000D060: 923C468C
	v_add_u32_e32 v6, s60, v6                                  // 00000000D064: 680C0C3C
	s_cmp_ge_i32 2, s73                                        // 00000000D068: BF034982
	s_cbranch_scc1 label_2640                                  // 00000000D06C: BF85018C
	v_mov_b32_e32 v30, v216                                    // 00000000D070: 7E3C03D8
	v_mov_b32_e32 v31, v217                                    // 00000000D074: 7E3E03D9
	v_cmp_u_f32_e64 s[74:75], v30, v30                         // 00000000D078: D048004A 00023D1E
	v_bfe_u32 v248, v30, 16, 1                                 // 00000000D080: D1C800F8 0205211E
	v_add3_u32 v248, v30, v248, v251                           // 00000000D088: D1FF00F8 07EFF11E
	v_cndmask_b32_e64 v28, v248, v250, s[74:75]                // 00000000D090: D100001C 012BF5F8
	v_lshrrev_b32_e32 v28, 16, v28                             // 00000000D098: 20383890
	v_cmp_u_f32_e64 s[74:75], v31, v31                         // 00000000D09C: D048004A 00023F1F
	v_bfe_u32 v248, v31, 16, 1                                 // 00000000D0A4: D1C800F8 0205211F
	v_add3_u32 v248, v31, v248, v251                           // 00000000D0AC: D1FF00F8 07EFF11F
	v_cndmask_b32_e64 v29, v248, v250, s[74:75]                // 00000000D0B4: D100001D 012BF5F8
	v_and_or_b32 v184, v29, v249, v28                          // 00000000D0BC: D20100B8 0473F31D
	v_mov_b32_e32 v30, v218                                    // 00000000D0C4: 7E3C03DA
	v_mov_b32_e32 v31, v219                                    // 00000000D0C8: 7E3E03DB
	v_cmp_u_f32_e64 s[74:75], v30, v30                         // 00000000D0CC: D048004A 00023D1E
	v_bfe_u32 v248, v30, 16, 1                                 // 00000000D0D4: D1C800F8 0205211E
	v_add3_u32 v248, v30, v248, v251                           // 00000000D0DC: D1FF00F8 07EFF11E
	v_cndmask_b32_e64 v28, v248, v250, s[74:75]                // 00000000D0E4: D100001C 012BF5F8
	v_lshrrev_b32_e32 v28, 16, v28                             // 00000000D0EC: 20383890
	v_cmp_u_f32_e64 s[74:75], v31, v31                         // 00000000D0F0: D048004A 00023F1F
	v_bfe_u32 v248, v31, 16, 1                                 // 00000000D0F8: D1C800F8 0205211F
	v_add3_u32 v248, v31, v248, v251                           // 00000000D100: D1FF00F8 07EFF11F
	v_cndmask_b32_e64 v29, v248, v250, s[74:75]                // 00000000D108: D100001D 012BF5F8
	v_and_or_b32 v185, v29, v249, v28                          // 00000000D110: D20100B9 0473F31D
	v_mov_b32_e32 v30, v220                                    // 00000000D118: 7E3C03DC
	v_mov_b32_e32 v31, v221                                    // 00000000D11C: 7E3E03DD
	v_cmp_u_f32_e64 s[74:75], v30, v30                         // 00000000D120: D048004A 00023D1E
	v_bfe_u32 v248, v30, 16, 1                                 // 00000000D128: D1C800F8 0205211E
	v_add3_u32 v248, v30, v248, v251                           // 00000000D130: D1FF00F8 07EFF11E
	v_cndmask_b32_e64 v28, v248, v250, s[74:75]                // 00000000D138: D100001C 012BF5F8
	v_lshrrev_b32_e32 v28, 16, v28                             // 00000000D140: 20383890
	v_cmp_u_f32_e64 s[74:75], v31, v31                         // 00000000D144: D048004A 00023F1F
	v_bfe_u32 v248, v31, 16, 1                                 // 00000000D14C: D1C800F8 0205211F
	v_add3_u32 v248, v31, v248, v251                           // 00000000D154: D1FF00F8 07EFF11F
	v_cndmask_b32_e64 v29, v248, v250, s[74:75]                // 00000000D15C: D100001D 012BF5F8
	v_and_or_b32 v186, v29, v249, v28                          // 00000000D164: D20100BA 0473F31D
	v_mov_b32_e32 v30, v222                                    // 00000000D16C: 7E3C03DE
	v_mov_b32_e32 v31, v223                                    // 00000000D170: 7E3E03DF
	v_cmp_u_f32_e64 s[74:75], v30, v30                         // 00000000D174: D048004A 00023D1E
	v_bfe_u32 v248, v30, 16, 1                                 // 00000000D17C: D1C800F8 0205211E
	v_add3_u32 v248, v30, v248, v251                           // 00000000D184: D1FF00F8 07EFF11E
	v_cndmask_b32_e64 v28, v248, v250, s[74:75]                // 00000000D18C: D100001C 012BF5F8
	v_lshrrev_b32_e32 v28, 16, v28                             // 00000000D194: 20383890
	v_cmp_u_f32_e64 s[74:75], v31, v31                         // 00000000D198: D048004A 00023F1F
	v_bfe_u32 v248, v31, 16, 1                                 // 00000000D1A0: D1C800F8 0205211F
	v_add3_u32 v248, v31, v248, v251                           // 00000000D1A8: D1FF00F8 07EFF11F
	v_cndmask_b32_e64 v29, v248, v250, s[74:75]                // 00000000D1B0: D100001D 012BF5F8
	v_and_or_b32 v187, v29, v249, v28                          // 00000000D1B8: D20100BB 0473F31D
	v_mov_b32_e32 v30, v224                                    // 00000000D1C0: 7E3C03E0
	v_mov_b32_e32 v31, v225                                    // 00000000D1C4: 7E3E03E1
	v_cmp_u_f32_e64 s[74:75], v30, v30                         // 00000000D1C8: D048004A 00023D1E
	v_bfe_u32 v248, v30, 16, 1                                 // 00000000D1D0: D1C800F8 0205211E
	v_add3_u32 v248, v30, v248, v251                           // 00000000D1D8: D1FF00F8 07EFF11E
	v_cndmask_b32_e64 v28, v248, v250, s[74:75]                // 00000000D1E0: D100001C 012BF5F8
	v_lshrrev_b32_e32 v28, 16, v28                             // 00000000D1E8: 20383890
	v_cmp_u_f32_e64 s[74:75], v31, v31                         // 00000000D1EC: D048004A 00023F1F
	v_bfe_u32 v248, v31, 16, 1                                 // 00000000D1F4: D1C800F8 0205211F
	v_add3_u32 v248, v31, v248, v251                           // 00000000D1FC: D1FF00F8 07EFF11F
	v_cndmask_b32_e64 v29, v248, v250, s[74:75]                // 00000000D204: D100001D 012BF5F8
	v_and_or_b32 v188, v29, v249, v28                          // 00000000D20C: D20100BC 0473F31D
	v_mov_b32_e32 v30, v226                                    // 00000000D214: 7E3C03E2
	v_mov_b32_e32 v31, v227                                    // 00000000D218: 7E3E03E3
	v_cmp_u_f32_e64 s[74:75], v30, v30                         // 00000000D21C: D048004A 00023D1E
	v_bfe_u32 v248, v30, 16, 1                                 // 00000000D224: D1C800F8 0205211E
	v_add3_u32 v248, v30, v248, v251                           // 00000000D22C: D1FF00F8 07EFF11E
	v_cndmask_b32_e64 v28, v248, v250, s[74:75]                // 00000000D234: D100001C 012BF5F8
	v_lshrrev_b32_e32 v28, 16, v28                             // 00000000D23C: 20383890
	v_cmp_u_f32_e64 s[74:75], v31, v31                         // 00000000D240: D048004A 00023F1F
	v_bfe_u32 v248, v31, 16, 1                                 // 00000000D248: D1C800F8 0205211F
	v_add3_u32 v248, v31, v248, v251                           // 00000000D250: D1FF00F8 07EFF11F
	v_cndmask_b32_e64 v29, v248, v250, s[74:75]                // 00000000D258: D100001D 012BF5F8
	v_and_or_b32 v189, v29, v249, v28                          // 00000000D260: D20100BD 0473F31D
	v_mov_b32_e32 v30, v228                                    // 00000000D268: 7E3C03E4
	v_mov_b32_e32 v31, v229                                    // 00000000D26C: 7E3E03E5
	v_cmp_u_f32_e64 s[74:75], v30, v30                         // 00000000D270: D048004A 00023D1E
	v_bfe_u32 v248, v30, 16, 1                                 // 00000000D278: D1C800F8 0205211E
	v_add3_u32 v248, v30, v248, v251                           // 00000000D280: D1FF00F8 07EFF11E
	v_cndmask_b32_e64 v28, v248, v250, s[74:75]                // 00000000D288: D100001C 012BF5F8
	v_lshrrev_b32_e32 v28, 16, v28                             // 00000000D290: 20383890
	v_cmp_u_f32_e64 s[74:75], v31, v31                         // 00000000D294: D048004A 00023F1F
	v_bfe_u32 v248, v31, 16, 1                                 // 00000000D29C: D1C800F8 0205211F
	v_add3_u32 v248, v31, v248, v251                           // 00000000D2A4: D1FF00F8 07EFF11F
	v_cndmask_b32_e64 v29, v248, v250, s[74:75]                // 00000000D2AC: D100001D 012BF5F8
	v_and_or_b32 v190, v29, v249, v28                          // 00000000D2B4: D20100BE 0473F31D
	v_mov_b32_e32 v30, v230                                    // 00000000D2BC: 7E3C03E6
	v_mov_b32_e32 v31, v231                                    // 00000000D2C0: 7E3E03E7
	v_cmp_u_f32_e64 s[74:75], v30, v30                         // 00000000D2C4: D048004A 00023D1E
	v_bfe_u32 v248, v30, 16, 1                                 // 00000000D2CC: D1C800F8 0205211E
	v_add3_u32 v248, v30, v248, v251                           // 00000000D2D4: D1FF00F8 07EFF11E
	v_cndmask_b32_e64 v28, v248, v250, s[74:75]                // 00000000D2DC: D100001C 012BF5F8
	v_lshrrev_b32_e32 v28, 16, v28                             // 00000000D2E4: 20383890
	v_cmp_u_f32_e64 s[74:75], v31, v31                         // 00000000D2E8: D048004A 00023F1F
	v_bfe_u32 v248, v31, 16, 1                                 // 00000000D2F0: D1C800F8 0205211F
	v_add3_u32 v248, v31, v248, v251                           // 00000000D2F8: D1FF00F8 07EFF11F
	v_cndmask_b32_e64 v29, v248, v250, s[74:75]                // 00000000D300: D100001D 012BF5F8
	v_and_or_b32 v191, v29, v249, v28                          // 00000000D308: D20100BF 0473F31D
	v_mov_b32_e32 v30, v232                                    // 00000000D310: 7E3C03E8
	v_mov_b32_e32 v31, v233                                    // 00000000D314: 7E3E03E9
	v_cmp_u_f32_e64 s[74:75], v30, v30                         // 00000000D318: D048004A 00023D1E
	v_bfe_u32 v248, v30, 16, 1                                 // 00000000D320: D1C800F8 0205211E
	v_add3_u32 v248, v30, v248, v251                           // 00000000D328: D1FF00F8 07EFF11E
	v_cndmask_b32_e64 v28, v248, v250, s[74:75]                // 00000000D330: D100001C 012BF5F8
	v_lshrrev_b32_e32 v28, 16, v28                             // 00000000D338: 20383890
	v_cmp_u_f32_e64 s[74:75], v31, v31                         // 00000000D33C: D048004A 00023F1F
	v_bfe_u32 v248, v31, 16, 1                                 // 00000000D344: D1C800F8 0205211F
	v_add3_u32 v248, v31, v248, v251                           // 00000000D34C: D1FF00F8 07EFF11F
	v_cndmask_b32_e64 v29, v248, v250, s[74:75]                // 00000000D354: D100001D 012BF5F8
	v_and_or_b32 v192, v29, v249, v28                          // 00000000D35C: D20100C0 0473F31D
	v_mov_b32_e32 v30, v234                                    // 00000000D364: 7E3C03EA
	v_mov_b32_e32 v31, v235                                    // 00000000D368: 7E3E03EB
	v_cmp_u_f32_e64 s[74:75], v30, v30                         // 00000000D36C: D048004A 00023D1E
	v_bfe_u32 v248, v30, 16, 1                                 // 00000000D374: D1C800F8 0205211E
	v_add3_u32 v248, v30, v248, v251                           // 00000000D37C: D1FF00F8 07EFF11E
	v_cndmask_b32_e64 v28, v248, v250, s[74:75]                // 00000000D384: D100001C 012BF5F8
	v_lshrrev_b32_e32 v28, 16, v28                             // 00000000D38C: 20383890
	v_cmp_u_f32_e64 s[74:75], v31, v31                         // 00000000D390: D048004A 00023F1F
	v_bfe_u32 v248, v31, 16, 1                                 // 00000000D398: D1C800F8 0205211F
	v_add3_u32 v248, v31, v248, v251                           // 00000000D3A0: D1FF00F8 07EFF11F
	v_cndmask_b32_e64 v29, v248, v250, s[74:75]                // 00000000D3A8: D100001D 012BF5F8
	v_and_or_b32 v193, v29, v249, v28                          // 00000000D3B0: D20100C1 0473F31D
	v_mov_b32_e32 v30, v236                                    // 00000000D3B8: 7E3C03EC
	v_mov_b32_e32 v31, v237                                    // 00000000D3BC: 7E3E03ED
	v_cmp_u_f32_e64 s[74:75], v30, v30                         // 00000000D3C0: D048004A 00023D1E
	v_bfe_u32 v248, v30, 16, 1                                 // 00000000D3C8: D1C800F8 0205211E
	v_add3_u32 v248, v30, v248, v251                           // 00000000D3D0: D1FF00F8 07EFF11E
	v_cndmask_b32_e64 v28, v248, v250, s[74:75]                // 00000000D3D8: D100001C 012BF5F8
	v_lshrrev_b32_e32 v28, 16, v28                             // 00000000D3E0: 20383890
	v_cmp_u_f32_e64 s[74:75], v31, v31                         // 00000000D3E4: D048004A 00023F1F
	v_bfe_u32 v248, v31, 16, 1                                 // 00000000D3EC: D1C800F8 0205211F
	v_add3_u32 v248, v31, v248, v251                           // 00000000D3F4: D1FF00F8 07EFF11F
	v_cndmask_b32_e64 v29, v248, v250, s[74:75]                // 00000000D3FC: D100001D 012BF5F8
	v_and_or_b32 v194, v29, v249, v28                          // 00000000D404: D20100C2 0473F31D
	v_mov_b32_e32 v30, v238                                    // 00000000D40C: 7E3C03EE
	v_mov_b32_e32 v31, v239                                    // 00000000D410: 7E3E03EF
	v_cmp_u_f32_e64 s[74:75], v30, v30                         // 00000000D414: D048004A 00023D1E
	v_bfe_u32 v248, v30, 16, 1                                 // 00000000D41C: D1C800F8 0205211E
	v_add3_u32 v248, v30, v248, v251                           // 00000000D424: D1FF00F8 07EFF11E
	v_cndmask_b32_e64 v28, v248, v250, s[74:75]                // 00000000D42C: D100001C 012BF5F8
	v_lshrrev_b32_e32 v28, 16, v28                             // 00000000D434: 20383890
	v_cmp_u_f32_e64 s[74:75], v31, v31                         // 00000000D438: D048004A 00023F1F
	v_bfe_u32 v248, v31, 16, 1                                 // 00000000D440: D1C800F8 0205211F
	v_add3_u32 v248, v31, v248, v251                           // 00000000D448: D1FF00F8 07EFF11F
	v_cndmask_b32_e64 v29, v248, v250, s[74:75]                // 00000000D450: D100001D 012BF5F8
	v_and_or_b32 v195, v29, v249, v28                          // 00000000D458: D20100C3 0473F31D
	v_mov_b32_e32 v30, v240                                    // 00000000D460: 7E3C03F0
	v_mov_b32_e32 v31, v241                                    // 00000000D464: 7E3E03F1
	v_cmp_u_f32_e64 s[74:75], v30, v30                         // 00000000D468: D048004A 00023D1E
	v_bfe_u32 v248, v30, 16, 1                                 // 00000000D470: D1C800F8 0205211E
	v_add3_u32 v248, v30, v248, v251                           // 00000000D478: D1FF00F8 07EFF11E
	v_cndmask_b32_e64 v28, v248, v250, s[74:75]                // 00000000D480: D100001C 012BF5F8
	v_lshrrev_b32_e32 v28, 16, v28                             // 00000000D488: 20383890
	v_cmp_u_f32_e64 s[74:75], v31, v31                         // 00000000D48C: D048004A 00023F1F
	v_bfe_u32 v248, v31, 16, 1                                 // 00000000D494: D1C800F8 0205211F
	v_add3_u32 v248, v31, v248, v251                           // 00000000D49C: D1FF00F8 07EFF11F
	v_cndmask_b32_e64 v29, v248, v250, s[74:75]                // 00000000D4A4: D100001D 012BF5F8
	v_and_or_b32 v196, v29, v249, v28                          // 00000000D4AC: D20100C4 0473F31D
	v_mov_b32_e32 v30, v242                                    // 00000000D4B4: 7E3C03F2
	v_mov_b32_e32 v31, v243                                    // 00000000D4B8: 7E3E03F3
	v_cmp_u_f32_e64 s[74:75], v30, v30                         // 00000000D4BC: D048004A 00023D1E
	v_bfe_u32 v248, v30, 16, 1                                 // 00000000D4C4: D1C800F8 0205211E
	v_add3_u32 v248, v30, v248, v251                           // 00000000D4CC: D1FF00F8 07EFF11E
	v_cndmask_b32_e64 v28, v248, v250, s[74:75]                // 00000000D4D4: D100001C 012BF5F8
	v_lshrrev_b32_e32 v28, 16, v28                             // 00000000D4DC: 20383890
	v_cmp_u_f32_e64 s[74:75], v31, v31                         // 00000000D4E0: D048004A 00023F1F
	v_bfe_u32 v248, v31, 16, 1                                 // 00000000D4E8: D1C800F8 0205211F
	v_add3_u32 v248, v31, v248, v251                           // 00000000D4F0: D1FF00F8 07EFF11F
	v_cndmask_b32_e64 v29, v248, v250, s[74:75]                // 00000000D4F8: D100001D 012BF5F8
	v_and_or_b32 v197, v29, v249, v28                          // 00000000D500: D20100C5 0473F31D
	v_mov_b32_e32 v30, v244                                    // 00000000D508: 7E3C03F4
	v_mov_b32_e32 v31, v245                                    // 00000000D50C: 7E3E03F5
	v_cmp_u_f32_e64 s[74:75], v30, v30                         // 00000000D510: D048004A 00023D1E
	v_bfe_u32 v248, v30, 16, 1                                 // 00000000D518: D1C800F8 0205211E
	v_add3_u32 v248, v30, v248, v251                           // 00000000D520: D1FF00F8 07EFF11E
	v_cndmask_b32_e64 v28, v248, v250, s[74:75]                // 00000000D528: D100001C 012BF5F8
	v_lshrrev_b32_e32 v28, 16, v28                             // 00000000D530: 20383890
	v_cmp_u_f32_e64 s[74:75], v31, v31                         // 00000000D534: D048004A 00023F1F
	v_bfe_u32 v248, v31, 16, 1                                 // 00000000D53C: D1C800F8 0205211F
	v_add3_u32 v248, v31, v248, v251                           // 00000000D544: D1FF00F8 07EFF11F
	v_cndmask_b32_e64 v29, v248, v250, s[74:75]                // 00000000D54C: D100001D 012BF5F8
	v_and_or_b32 v198, v29, v249, v28                          // 00000000D554: D20100C6 0473F31D
	v_mov_b32_e32 v30, v246                                    // 00000000D55C: 7E3C03F6
	v_mov_b32_e32 v31, v247                                    // 00000000D560: 7E3E03F7
	v_cmp_u_f32_e64 s[74:75], v30, v30                         // 00000000D564: D048004A 00023D1E
	v_bfe_u32 v248, v30, 16, 1                                 // 00000000D56C: D1C800F8 0205211E
	v_add3_u32 v248, v30, v248, v251                           // 00000000D574: D1FF00F8 07EFF11E
	v_cndmask_b32_e64 v28, v248, v250, s[74:75]                // 00000000D57C: D100001C 012BF5F8
	v_lshrrev_b32_e32 v28, 16, v28                             // 00000000D584: 20383890
	v_cmp_u_f32_e64 s[74:75], v31, v31                         // 00000000D588: D048004A 00023F1F
	v_bfe_u32 v248, v31, 16, 1                                 // 00000000D590: D1C800F8 0205211F
	v_add3_u32 v248, v31, v248, v251                           // 00000000D598: D1FF00F8 07EFF11F
	v_cndmask_b32_e64 v29, v248, v250, s[74:75]                // 00000000D5A0: D100001D 012BF5F8
	v_and_or_b32 v199, v29, v249, v28                          // 00000000D5A8: D20100C7 0473F31D
	ds_write_b64 v25, v[184:185] offset:33792                  // 00000000D5B0: D89A8400 0000B819
	ds_write_b64 v25, v[186:187] offset:34320                  // 00000000D5B8: D89A8610 0000BA19
	ds_write_b64 v25, v[188:189] offset:34848                  // 00000000D5C0: D89A8820 0000BC19
	ds_write_b64 v25, v[190:191] offset:35376                  // 00000000D5C8: D89A8A30 0000BE19
	ds_write_b64 v25, v[192:193] offset:35904                  // 00000000D5D0: D89A8C40 0000C019
	ds_write_b64 v25, v[194:195] offset:36432                  // 00000000D5D8: D89A8E50 0000C219
	ds_write_b64 v25, v[196:197] offset:36960                  // 00000000D5E0: D89A9060 0000C419
	ds_write_b64 v25, v[198:199] offset:37488                  // 00000000D5E8: D89A9270 0000C619
	s_waitcnt lgkmcnt(0)                                       // 00000000D5F0: BF8CC07F
	s_barrier                                                  // 00000000D5F4: BF8A0000
	ds_read_b64 v[184:185], v24 offset:33792                   // 00000000D5F8: D8EC8400 B8000018
	ds_read_b64 v[186:187], v24 offset:33920                   // 00000000D600: D8EC8480 BA000018
	ds_read_b64 v[188:189], v24 offset:33824                   // 00000000D608: D8EC8420 BC000018
	ds_read_b64 v[190:191], v24 offset:33952                   // 00000000D610: D8EC84A0 BE000018
	ds_read_b64 v[192:193], v24 offset:33856                   // 00000000D618: D8EC8440 C0000018
	ds_read_b64 v[194:195], v24 offset:33984                   // 00000000D620: D8EC84C0 C2000018
	ds_read_b64 v[196:197], v24 offset:33888                   // 00000000D628: D8EC8460 C4000018
	ds_read_b64 v[198:199], v24 offset:34016                   // 00000000D630: D8EC84E0 C6000018
	s_waitcnt lgkmcnt(0)                                       // 00000000D638: BF8CC07F
	s_mov_b32 s70, s53                                         // 00000000D63C: BEC60035
	s_mov_b64 exec, s[90:91]                                   // 00000000D640: BEFE015A
	buffer_store_dwordx4 v[184:187], v6, s[40:43], 0 idxen     // 00000000D644: E07C2000 800AB806
	s_mov_b64 exec, s[86:87]                                   // 00000000D64C: BEFE0156
	v_add_u32_e32 v6, s70, v6                                  // 00000000D650: 680C0C46
	s_mov_b64 exec, s[90:91]                                   // 00000000D654: BEFE015A
	buffer_store_dwordx4 v[188:191], v6, s[40:43], 0 idxen     // 00000000D658: E07C2000 800ABC06
	s_mov_b64 exec, s[86:87]                                   // 00000000D660: BEFE0156
	v_add_u32_e32 v6, s70, v6                                  // 00000000D664: 680C0C46
	s_mov_b64 exec, s[90:91]                                   // 00000000D668: BEFE015A
	buffer_store_dwordx4 v[192:195], v6, s[40:43], 0 idxen     // 00000000D66C: E07C2000 800AC006
	s_mov_b64 exec, s[86:87]                                   // 00000000D674: BEFE0156
	v_add_u32_e32 v6, s70, v6                                  // 00000000D678: 680C0C46
	s_mov_b64 exec, s[90:91]                                   // 00000000D67C: BEFE015A
	buffer_store_dwordx4 v[196:199], v6, s[40:43], 0 idxen     // 00000000D680: E07C2000 800AC406
	s_mov_b64 exec, s[86:87]                                   // 00000000D688: BEFE0156
	v_add_u32_e32 v6, s70, v6                                  // 00000000D68C: 680C0C46
	s_mul_i32 s60, 12, s70                                     // 00000000D690: 923C468C
	v_add_u32_e32 v6, s60, v6                                  // 00000000D694: 680C0C3C
	s_cmp_ge_i32 3, s73                                        // 00000000D698: BF034983
	s_cbranch_scc1 label_2640                                  // 00000000D69C: BF850000

000000000000d6a0 <label_2640>:
	s_waitcnt vmcnt(0) expcnt(0) lgkmcnt(0)                    // 00000000D6A0: BF8C0000
	s_endpgm                                                   // 00000000D6A4: BF810000
